;; amdgpu-corpus repo=ROCm/rocFFT kind=compiled arch=gfx1201 opt=O3
	.text
	.amdgcn_target "amdgcn-amd-amdhsa--gfx1201"
	.amdhsa_code_object_version 6
	.protected	bluestein_single_back_len1014_dim1_dp_op_CI_CI ; -- Begin function bluestein_single_back_len1014_dim1_dp_op_CI_CI
	.globl	bluestein_single_back_len1014_dim1_dp_op_CI_CI
	.p2align	8
	.type	bluestein_single_back_len1014_dim1_dp_op_CI_CI,@function
bluestein_single_back_len1014_dim1_dp_op_CI_CI: ; @bluestein_single_back_len1014_dim1_dp_op_CI_CI
; %bb.0:
	s_load_b128 s[16:19], s[0:1], 0x28
	v_mul_u32_u24_e32 v1, 0x349, v0
	v_mov_b32_e32 v7, 0
	s_mov_b32 s2, exec_lo
	s_delay_alu instid0(VALU_DEP_2) | instskip(NEXT) | instid1(VALU_DEP_1)
	v_lshrrev_b32_e32 v1, 16, v1
	v_lshl_add_u32 v6, ttmp9, 1, v1
	s_wait_kmcnt 0x0
	s_delay_alu instid0(VALU_DEP_1)
	v_cmpx_gt_u64_e64 s[16:17], v[6:7]
	s_cbranch_execz .LBB0_10
; %bb.1:
	s_clause 0x1
	s_load_b128 s[4:7], s[0:1], 0x18
	s_load_b128 s[8:11], s[0:1], 0x0
	v_mul_lo_u16 v2, 0x4e, v1
	s_mov_b32 s28, 0x42a4c3d2
	s_mov_b32 s26, 0x66966769
	;; [unrolled: 1-line block ×4, first 2 shown]
	v_sub_nc_u16 v24, v0, v2
	s_mov_b32 s16, 0x4bc48dbf
	s_mov_b32 s35, 0xbfddbe06
	;; [unrolled: 1-line block ×4, first 2 shown]
	v_and_b32_e32 v196, 0xffff, v24
	s_mov_b32 s27, 0xbfefc445
	s_mov_b32 s25, 0xbfedeba7
	;; [unrolled: 1-line block ×7, first 2 shown]
	s_wait_kmcnt 0x0
	s_load_b128 s[12:15], s[4:5], 0x0
	s_mov_b32 s21, 0x3fe22d96
	s_mov_b32 s39, 0x3fe5384d
	;; [unrolled: 1-line block ×7, first 2 shown]
	s_load_b64 s[0:1], s[0:1], 0x38
	s_wait_kmcnt 0x0
	v_mad_co_u64_u32 v[2:3], null, s14, v6, 0
	v_mad_co_u64_u32 v[4:5], null, s12, v196, 0
	s_mul_u64 s[2:3], s[12:13], 0x4e0
	s_delay_alu instid0(VALU_DEP_1)
	v_dual_mov_b32 v0, v3 :: v_dual_mov_b32 v3, v5
	v_mov_b32_e32 v5, v6
	v_lshlrev_b32_e32 v255, 4, v196
	scratch_store_b64 off, v[5:6], off offset:84 ; 8-byte Folded Spill
	v_mad_co_u64_u32 v[5:6], null, s15, v6, v[0:1]
	v_mad_co_u64_u32 v[6:7], null, s13, v196, v[3:4]
	s_mov_b32 s14, 0xb2365da1
	s_mov_b32 s12, 0xd0032e0c
	;; [unrolled: 1-line block ×4, first 2 shown]
	s_delay_alu instid0(VALU_DEP_2) | instskip(NEXT) | instid1(VALU_DEP_2)
	v_mov_b32_e32 v3, v5
	v_mov_b32_e32 v5, v6
	s_delay_alu instid0(VALU_DEP_2) | instskip(NEXT) | instid1(VALU_DEP_2)
	v_lshlrev_b64_e32 v[2:3], 4, v[2:3]
	v_lshlrev_b64_e32 v[4:5], 4, v[4:5]
	s_delay_alu instid0(VALU_DEP_2) | instskip(NEXT) | instid1(VALU_DEP_3)
	v_add_co_u32 v0, vcc_lo, s18, v2
	v_add_co_ci_u32_e32 v3, vcc_lo, s19, v3, vcc_lo
	s_mov_b32 s18, 0xebaa3ed8
	s_delay_alu instid0(VALU_DEP_2) | instskip(SKIP_1) | instid1(VALU_DEP_2)
	v_add_co_u32 v2, vcc_lo, v0, v4
	s_wait_alu 0xfffd
	v_add_co_ci_u32_e32 v3, vcc_lo, v3, v5, vcc_lo
	v_and_b32_e32 v0, 1, v1
	s_delay_alu instid0(VALU_DEP_3) | instskip(SKIP_1) | instid1(VALU_DEP_3)
	v_add_co_u32 v10, vcc_lo, v2, s2
	s_wait_alu 0xfffd
	v_add_co_ci_u32_e32 v11, vcc_lo, s3, v3, vcc_lo
	global_load_b128 v[2:5], v[2:3], off
	s_clause 0x1
	global_load_b128 v[29:32], v255, s[8:9]
	global_load_b128 v[25:28], v255, s[8:9] offset:1248
	global_load_b128 v[6:9], v[10:11], off
	v_add_co_u32 v14, vcc_lo, v10, s2
	s_wait_alu 0xfffd
	v_add_co_ci_u32_e32 v15, vcc_lo, s3, v11, vcc_lo
	global_load_b128 v[10:13], v[14:15], off
	global_load_b128 v[33:36], v255, s[8:9] offset:2496
	s_mov_b32 s19, 0x3fbedb7d
	s_wait_loadcnt 0x4
	v_mul_f64_e32 v[16:17], v[4:5], v[31:32]
	v_mul_f64_e32 v[18:19], v[2:3], v[31:32]
	s_wait_loadcnt 0x2
	v_mul_f64_e32 v[20:21], v[8:9], v[27:28]
	v_mul_f64_e32 v[22:23], v[6:7], v[27:28]
	s_clause 0x1
	scratch_store_b128 off, v[29:32], off offset:108
	scratch_store_b128 off, v[25:28], off offset:92
	v_fma_f64 v[2:3], v[2:3], v[29:30], v[16:17]
	s_wait_loadcnt 0x0
	v_mul_f64_e32 v[16:17], v[12:13], v[35:36]
	v_fma_f64 v[6:7], v[6:7], v[25:26], v[20:21]
	v_add_co_u32 v20, vcc_lo, v14, s2
	s_wait_alu 0xfffd
	v_add_co_ci_u32_e32 v21, vcc_lo, s3, v15, vcc_lo
	v_fma_f64 v[4:5], v[4:5], v[29:30], -v[18:19]
	global_load_b128 v[29:32], v255, s[8:9] offset:3744
	v_mul_f64_e32 v[18:19], v[10:11], v[35:36]
	v_fma_f64 v[8:9], v[8:9], v[25:26], -v[22:23]
	v_add_co_u32 v22, vcc_lo, v20, s2
	s_wait_alu 0xfffd
	v_add_co_ci_u32_e32 v23, vcc_lo, s3, v21, vcc_lo
	scratch_store_b128 off, v[33:36], off offset:128 ; 16-byte Folded Spill
	v_fma_f64 v[10:11], v[10:11], v[33:34], v[16:17]
	global_load_b128 v[14:17], v[20:21], off
	v_fma_f64 v[12:13], v[12:13], v[33:34], -v[18:19]
	global_load_b128 v[18:21], v[22:23], off
	v_add_co_u32 v22, vcc_lo, v22, s2
	s_wait_alu 0xfffd
	v_add_co_ci_u32_e32 v23, vcc_lo, s3, v23, vcc_lo
	s_wait_loadcnt 0x2
	scratch_store_b128 off, v[29:32], off offset:144 ; 16-byte Folded Spill
	s_wait_loadcnt 0x1
	v_mul_f64_e32 v[25:26], v[16:17], v[31:32]
	v_mul_f64_e32 v[27:28], v[14:15], v[31:32]
	s_delay_alu instid0(VALU_DEP_2) | instskip(NEXT) | instid1(VALU_DEP_2)
	v_fma_f64 v[14:15], v[14:15], v[29:30], v[25:26]
	v_fma_f64 v[16:17], v[16:17], v[29:30], -v[27:28]
	s_clause 0x1
	global_load_b128 v[29:32], v255, s[8:9] offset:4992
	global_load_b128 v[33:36], v255, s[8:9] offset:6240
	s_wait_loadcnt 0x1
	v_mul_f64_e32 v[25:26], v[20:21], v[31:32]
	v_mul_f64_e32 v[27:28], v[18:19], v[31:32]
	scratch_store_b128 off, v[29:32], off offset:160 ; 16-byte Folded Spill
	s_wait_loadcnt 0x0
	scratch_store_b128 off, v[33:36], off offset:176 ; 16-byte Folded Spill
	v_fma_f64 v[18:19], v[18:19], v[29:30], v[25:26]
	v_fma_f64 v[20:21], v[20:21], v[29:30], -v[27:28]
	global_load_b128 v[25:28], v[22:23], off
	v_add_co_u32 v22, vcc_lo, v22, s2
	s_wait_alu 0xfffd
	v_add_co_ci_u32_e32 v23, vcc_lo, s3, v23, vcc_lo
	s_wait_loadcnt 0x0
	v_mul_f64_e32 v[29:30], v[27:28], v[35:36]
	v_mul_f64_e32 v[31:32], v[25:26], v[35:36]
	s_delay_alu instid0(VALU_DEP_2) | instskip(NEXT) | instid1(VALU_DEP_2)
	v_fma_f64 v[25:26], v[25:26], v[33:34], v[29:30]
	v_fma_f64 v[27:28], v[27:28], v[33:34], -v[31:32]
	global_load_b128 v[29:32], v[22:23], off
	s_clause 0x1
	global_load_b128 v[37:40], v255, s[8:9] offset:7488
	global_load_b128 v[41:44], v255, s[8:9] offset:8736
	v_add_co_u32 v22, vcc_lo, v22, s2
	s_wait_alu 0xfffd
	v_add_co_ci_u32_e32 v23, vcc_lo, s3, v23, vcc_lo
	s_wait_loadcnt 0x1
	v_mul_f64_e32 v[33:34], v[31:32], v[39:40]
	v_mul_f64_e32 v[35:36], v[29:30], v[39:40]
	scratch_store_b128 off, v[37:40], off offset:192 ; 16-byte Folded Spill
	s_wait_loadcnt 0x0
	scratch_store_b128 off, v[41:44], off offset:208 ; 16-byte Folded Spill
	v_fma_f64 v[29:30], v[29:30], v[37:38], v[33:34]
	v_fma_f64 v[31:32], v[31:32], v[37:38], -v[35:36]
	global_load_b128 v[33:36], v[22:23], off
	v_add_co_u32 v22, vcc_lo, v22, s2
	s_wait_alu 0xfffd
	v_add_co_ci_u32_e32 v23, vcc_lo, s3, v23, vcc_lo
	s_wait_loadcnt 0x0
	v_mul_f64_e32 v[37:38], v[35:36], v[43:44]
	v_mul_f64_e32 v[39:40], v[33:34], v[43:44]
	s_delay_alu instid0(VALU_DEP_2) | instskip(NEXT) | instid1(VALU_DEP_2)
	v_fma_f64 v[33:34], v[33:34], v[41:42], v[37:38]
	v_fma_f64 v[35:36], v[35:36], v[41:42], -v[39:40]
	global_load_b128 v[37:40], v[22:23], off
	s_clause 0x1
	global_load_b128 v[45:48], v255, s[8:9] offset:9984
	global_load_b128 v[49:52], v255, s[8:9] offset:11232
	v_add_co_u32 v22, vcc_lo, v22, s2
	s_wait_alu 0xfffd
	v_add_co_ci_u32_e32 v23, vcc_lo, s3, v23, vcc_lo
	;; [unrolled: 25-line block ×3, first 2 shown]
	s_wait_loadcnt 0x1
	v_mul_f64_e32 v[49:50], v[47:48], v[55:56]
	v_mul_f64_e32 v[51:52], v[45:46], v[55:56]
	scratch_store_b128 off, v[53:56], off offset:256 ; 16-byte Folded Spill
	s_wait_loadcnt 0x0
	scratch_store_b128 off, v[57:60], off offset:272 ; 16-byte Folded Spill
	v_fma_f64 v[45:46], v[45:46], v[53:54], v[49:50]
	v_fma_f64 v[47:48], v[47:48], v[53:54], -v[51:52]
	global_load_b128 v[49:52], v[22:23], off
	v_add_co_u32 v22, vcc_lo, v22, s2
	s_wait_alu 0xfffd
	v_add_co_ci_u32_e32 v23, vcc_lo, s3, v23, vcc_lo
	v_cmp_eq_u32_e32 vcc_lo, 1, v0
	s_mov_b32 s2, 0x93053d00
	s_mov_b32 s3, 0xbfef11f4
	s_wait_alu 0xfffd
	v_cndmask_b32_e64 v197, 0, 0x3f60, vcc_lo
	v_cmp_gt_u16_e32 vcc_lo, 13, v24
	s_wait_loadcnt 0x0
	v_mul_f64_e32 v[53:54], v[51:52], v[59:60]
	v_mul_f64_e32 v[55:56], v[49:50], v[59:60]
	s_delay_alu instid0(VALU_DEP_2) | instskip(NEXT) | instid1(VALU_DEP_2)
	v_fma_f64 v[53:54], v[49:50], v[57:58], v[53:54]
	v_fma_f64 v[55:56], v[51:52], v[57:58], -v[55:56]
	global_load_b128 v[49:52], v[22:23], off
	global_load_b128 v[61:64], v255, s[8:9] offset:14976
	s_wait_loadcnt 0x0
	v_mul_f64_e32 v[22:23], v[51:52], v[63:64]
	v_mul_f64_e32 v[59:60], v[49:50], v[63:64]
	scratch_store_b128 off, v[61:64], off offset:288 ; 16-byte Folded Spill
	v_fma_f64 v[57:58], v[49:50], v[61:62], v[22:23]
	v_fma_f64 v[59:60], v[51:52], v[61:62], -v[59:60]
	v_add_nc_u32_e32 v51, v197, v255
	ds_store_b128 v51, v[2:5]
	ds_store_b128 v51, v[6:9] offset:1248
	ds_store_b128 v51, v[10:13] offset:2496
	;; [unrolled: 1-line block ×12, first 2 shown]
	s_load_b128 s[4:7], s[6:7], 0x0
	global_wb scope:SCOPE_SE
	s_wait_storecnt_dscnt 0x0
	s_wait_kmcnt 0x0
	s_barrier_signal -1
	s_barrier_wait -1
	global_inv scope:SCOPE_SE
	ds_load_b128 v[52:55], v51
	ds_load_b128 v[56:59], v51 offset:1248
	ds_load_b128 v[60:63], v51 offset:2496
	;; [unrolled: 1-line block ×7, first 2 shown]
	s_wait_dscnt 0x6
	v_add_f64_e32 v[0:1], v[52:53], v[56:57]
	v_add_f64_e32 v[2:3], v[54:55], v[58:59]
	s_wait_dscnt 0x5
	s_delay_alu instid0(VALU_DEP_2) | instskip(NEXT) | instid1(VALU_DEP_2)
	v_add_f64_e32 v[0:1], v[0:1], v[60:61]
	v_add_f64_e32 v[2:3], v[2:3], v[62:63]
	s_wait_dscnt 0x4
	s_delay_alu instid0(VALU_DEP_2) | instskip(NEXT) | instid1(VALU_DEP_2)
	;; [unrolled: 4-line block ×5, first 2 shown]
	v_add_f64_e32 v[12:13], v[0:1], v[4:5]
	v_add_f64_e32 v[14:15], v[2:3], v[6:7]
	s_wait_dscnt 0x0
	v_add_f64_e32 v[0:1], v[4:5], v[8:9]
	v_add_f64_e32 v[2:3], v[6:7], v[10:11]
	v_add_f64_e64 v[4:5], v[4:5], -v[8:9]
	v_add_f64_e64 v[6:7], v[6:7], -v[10:11]
	v_add_f64_e32 v[20:21], v[12:13], v[8:9]
	v_add_f64_e32 v[22:23], v[14:15], v[10:11]
	ds_load_b128 v[12:15], v51 offset:9984
	ds_load_b128 v[25:28], v51 offset:11232
	v_mul_f64_e32 v[138:139], s[22:23], v[4:5]
	v_mul_f64_e32 v[136:137], s[22:23], v[6:7]
	;; [unrolled: 1-line block ×4, first 2 shown]
	s_wait_dscnt 0x1
	v_add_f64_e32 v[8:9], v[72:73], v[12:13]
	v_add_f64_e32 v[10:11], v[74:75], v[14:15]
	v_add_f64_e64 v[16:17], v[72:73], -v[12:13]
	v_add_f64_e64 v[18:19], v[74:75], -v[14:15]
	v_add_f64_e32 v[29:30], v[20:21], v[12:13]
	v_add_f64_e32 v[31:32], v[22:23], v[14:15]
	s_wait_dscnt 0x0
	v_add_f64_e32 v[12:13], v[68:69], v[25:26]
	v_add_f64_e32 v[14:15], v[70:71], v[27:28]
	v_add_f64_e64 v[20:21], v[68:69], -v[25:26]
	v_add_f64_e64 v[22:23], v[70:71], -v[27:28]
	v_mul_f64_e32 v[114:115], s[36:37], v[16:17]
	v_mul_f64_e32 v[112:113], s[36:37], v[18:19]
	;; [unrolled: 1-line block ×4, first 2 shown]
	v_add_f64_e32 v[33:34], v[29:30], v[25:26]
	v_add_f64_e32 v[35:36], v[31:32], v[27:28]
	ds_load_b128 v[25:28], v51 offset:12480
	ds_load_b128 v[29:32], v51 offset:13728
	scratch_store_b32 off, v197, off        ; 4-byte Folded Spill
	v_mul_f64_e32 v[110:111], s[38:39], v[20:21]
	v_mul_f64_e32 v[108:109], s[38:39], v[22:23]
	;; [unrolled: 1-line block ×4, first 2 shown]
	s_wait_dscnt 0x1
	v_add_f64_e32 v[49:50], v[64:65], v[25:26]
	v_add_f64_e32 v[72:73], v[66:67], v[27:28]
	v_add_f64_e64 v[74:75], v[64:65], -v[25:26]
	v_add_f64_e64 v[76:77], v[66:67], -v[27:28]
	s_wait_dscnt 0x0
	v_add_f64_e64 v[78:79], v[60:61], -v[29:30]
	v_add_f64_e64 v[80:81], v[62:63], -v[31:32]
	v_add_f64_e32 v[82:83], v[60:61], v[29:30]
	v_add_f64_e32 v[84:85], v[62:63], v[31:32]
	;; [unrolled: 1-line block ×4, first 2 shown]
	v_mul_f64_e32 v[126:127], s[40:41], v[74:75]
	v_mul_f64_e32 v[124:125], s[40:41], v[76:77]
	;; [unrolled: 1-line block ×6, first 2 shown]
	s_mov_b32 s39, 0x3fcea1e5
	s_mov_b32 s38, s16
	;; [unrolled: 1-line block ×3, first 2 shown]
	s_wait_alu 0xfffe
	v_mul_f64_e32 v[152:153], s[38:39], v[18:19]
	v_mul_f64_e32 v[154:155], s[38:39], v[16:17]
	s_mov_b32 s40, s28
	v_mul_f64_e32 v[160:161], s[36:37], v[78:79]
	s_wait_alu 0xfffe
	v_mul_f64_e32 v[156:157], s[40:41], v[6:7]
	v_mul_f64_e32 v[158:159], s[40:41], v[4:5]
	v_add_f64_e32 v[29:30], v[25:26], v[29:30]
	v_add_f64_e32 v[31:32], v[27:28], v[31:32]
	ds_load_b128 v[25:28], v51 offset:14976
	v_mul_f64_e32 v[162:163], s[28:29], v[74:75]
	v_mul_f64_e32 v[164:165], s[38:39], v[22:23]
	;; [unrolled: 1-line block ×3, first 2 shown]
	global_wb scope:SCOPE_SE
	s_wait_storecnt_dscnt 0x0
	s_barrier_signal -1
	s_barrier_wait -1
	global_inv scope:SCOPE_SE
	v_add_f64_e64 v[33:34], v[58:59], -v[27:28]
	v_add_f64_e64 v[35:36], v[56:57], -v[25:26]
	v_add_f64_e32 v[37:38], v[56:57], v[25:26]
	v_add_f64_e32 v[39:40], v[58:59], v[27:28]
	;; [unrolled: 1-line block ×4, first 2 shown]
	v_mul_f64_e32 v[29:30], s[34:35], v[33:34]
	v_mul_f64_e32 v[31:32], s[28:29], v[33:34]
	v_mul_f64_e32 v[41:42], s[26:27], v[33:34]
	v_mul_f64_e32 v[43:44], s[24:25], v[33:34]
	v_mul_f64_e32 v[45:46], s[22:23], v[33:34]
	v_mul_f64_e32 v[33:34], s[16:17], v[33:34]
	v_mul_f64_e32 v[68:69], s[26:27], v[35:36]
	v_mul_f64_e32 v[66:67], s[28:29], v[35:36]
	v_mul_f64_e32 v[70:71], s[24:25], v[35:36]
	v_mul_f64_e32 v[86:87], s[22:23], v[35:36]
	v_fma_f64 v[47:48], v[37:38], s[30:31], -v[29:30]
	v_fma_f64 v[29:30], v[37:38], s[30:31], v[29:30]
	v_fma_f64 v[56:57], v[37:38], s[20:21], -v[31:32]
	v_fma_f64 v[31:32], v[37:38], s[20:21], v[31:32]
	;; [unrolled: 2-line block ×6, first 2 shown]
	v_mul_f64_e32 v[37:38], s[34:35], v[35:36]
	v_fma_f64 v[92:93], v[39:40], s[18:19], v[68:69]
	v_mul_f64_e32 v[35:36], s[16:17], v[35:36]
	v_fma_f64 v[90:91], v[39:40], s[20:21], v[66:67]
	v_fma_f64 v[94:95], v[39:40], s[14:15], v[70:71]
	;; [unrolled: 1-line block ×3, first 2 shown]
	v_fma_f64 v[66:67], v[39:40], s[20:21], -v[66:67]
	v_fma_f64 v[68:69], v[39:40], s[18:19], -v[68:69]
	;; [unrolled: 1-line block ×4, first 2 shown]
	s_mov_b32 s35, 0x3fddbe06
	s_wait_alu 0xfffe
	v_mul_f64_e32 v[116:117], s[34:35], v[6:7]
	v_mul_f64_e32 v[118:119], s[34:35], v[4:5]
	;; [unrolled: 1-line block ×10, first 2 shown]
	v_add_f64_e32 v[100:101], v[52:53], v[47:48]
	v_add_f64_e32 v[102:103], v[52:53], v[29:30]
	;; [unrolled: 1-line block ×3, first 2 shown]
	v_fma_f64 v[88:89], v[39:40], s[30:31], v[37:38]
	v_fma_f64 v[37:38], v[39:40], s[30:31], -v[37:38]
	v_add_f64_e32 v[47:48], v[54:55], v[92:93]
	v_mul_f64_e32 v[92:93], s[24:25], v[80:81]
	v_fma_f64 v[98:99], v[39:40], s[2:3], v[35:36]
	v_fma_f64 v[35:36], v[39:40], s[2:3], -v[35:36]
	v_add_f64_e32 v[39:40], v[52:53], v[58:59]
	v_add_f64_e32 v[56:57], v[54:55], v[94:95]
	;; [unrolled: 1-line block ×3, first 2 shown]
	v_mul_f64_e32 v[94:95], s[24:25], v[78:79]
	v_mul_f64_e32 v[96:97], s[16:17], v[76:77]
	v_add_f64_e32 v[106:107], v[54:55], v[66:67]
	v_add_f64_e32 v[66:67], v[52:53], v[41:42]
	;; [unrolled: 1-line block ×10, first 2 shown]
	v_mul_f64_e32 v[78:79], s[28:29], v[78:79]
	v_add_f64_e32 v[88:89], v[54:55], v[88:89]
	v_add_f64_e32 v[104:105], v[54:55], v[37:38]
	;; [unrolled: 1-line block ×4, first 2 shown]
	v_fma_f64 v[31:32], v[82:83], s[14:15], -v[92:93]
	v_add_f64_e32 v[64:65], v[54:55], v[98:99]
	v_add_f64_e32 v[52:53], v[52:53], v[33:34]
	v_mul_f64_e32 v[98:99], s[16:17], v[74:75]
	v_add_f64_e32 v[54:55], v[54:55], v[35:36]
	v_fma_f64 v[35:36], v[84:85], s[2:3], v[122:123]
	v_fma_f64 v[33:34], v[49:50], s[2:3], -v[96:97]
	v_add_f64_e32 v[29:30], v[31:32], v[29:30]
	v_fma_f64 v[31:32], v[84:85], s[14:15], v[94:95]
	s_delay_alu instid0(VALU_DEP_4) | instskip(NEXT) | instid1(VALU_DEP_3)
	v_add_f64_e32 v[35:36], v[35:36], v[47:48]
	v_add_f64_e32 v[29:30], v[33:34], v[29:30]
	s_delay_alu instid0(VALU_DEP_3) | instskip(SKIP_2) | instid1(VALU_DEP_2)
	v_add_f64_e32 v[31:32], v[31:32], v[37:38]
	v_fma_f64 v[33:34], v[72:73], s[2:3], v[98:99]
	v_fma_f64 v[37:38], v[49:50], s[14:15], -v[124:125]
	v_add_f64_e32 v[31:32], v[33:34], v[31:32]
	v_fma_f64 v[33:34], v[12:13], s[12:13], -v[108:109]
	s_delay_alu instid0(VALU_DEP_1) | instskip(SKIP_1) | instid1(VALU_DEP_1)
	v_add_f64_e32 v[29:30], v[33:34], v[29:30]
	v_fma_f64 v[33:34], v[14:15], s[12:13], v[110:111]
	v_add_f64_e32 v[31:32], v[33:34], v[31:32]
	v_fma_f64 v[33:34], v[8:9], s[18:19], -v[112:113]
	s_delay_alu instid0(VALU_DEP_1) | instskip(SKIP_1) | instid1(VALU_DEP_1)
	v_add_f64_e32 v[29:30], v[33:34], v[29:30]
	v_fma_f64 v[33:34], v[10:11], s[18:19], v[114:115]
	;; [unrolled: 5-line block ×3, first 2 shown]
	v_add_f64_e32 v[31:32], v[33:34], v[31:32]
	v_fma_f64 v[33:34], v[82:83], s[2:3], -v[120:121]
	s_delay_alu instid0(VALU_DEP_1) | instskip(SKIP_1) | instid1(VALU_DEP_2)
	v_add_f64_e32 v[33:34], v[33:34], v[39:40]
	v_fma_f64 v[39:40], v[84:85], s[12:13], v[142:143]
	v_add_f64_e32 v[33:34], v[37:38], v[33:34]
	v_fma_f64 v[37:38], v[72:73], s[14:15], v[126:127]
	s_delay_alu instid0(VALU_DEP_3) | instskip(SKIP_2) | instid1(VALU_DEP_4)
	v_add_f64_e32 v[39:40], v[39:40], v[56:57]
	v_mul_f64_e32 v[56:57], s[36:37], v[80:81]
	v_mul_f64_e32 v[80:81], s[28:29], v[80:81]
	v_add_f64_e32 v[35:36], v[37:38], v[35:36]
	v_fma_f64 v[37:38], v[12:13], s[30:31], -v[128:129]
	s_delay_alu instid0(VALU_DEP_1) | instskip(SKIP_1) | instid1(VALU_DEP_1)
	v_add_f64_e32 v[33:34], v[37:38], v[33:34]
	v_fma_f64 v[37:38], v[14:15], s[30:31], v[130:131]
	v_add_f64_e32 v[35:36], v[37:38], v[35:36]
	v_fma_f64 v[37:38], v[8:9], s[20:21], -v[132:133]
	s_delay_alu instid0(VALU_DEP_1) | instskip(SKIP_1) | instid1(VALU_DEP_1)
	v_add_f64_e32 v[33:34], v[37:38], v[33:34]
	v_fma_f64 v[37:38], v[10:11], s[20:21], v[134:135]
	;; [unrolled: 5-line block ×3, first 2 shown]
	v_add_f64_e32 v[35:36], v[37:38], v[35:36]
	v_fma_f64 v[37:38], v[82:83], s[12:13], -v[140:141]
	s_delay_alu instid0(VALU_DEP_1) | instskip(SKIP_1) | instid1(VALU_DEP_1)
	v_add_f64_e32 v[37:38], v[37:38], v[41:42]
	v_fma_f64 v[41:42], v[49:50], s[30:31], -v[144:145]
	v_add_f64_e32 v[37:38], v[41:42], v[37:38]
	v_fma_f64 v[41:42], v[72:73], s[30:31], v[146:147]
	s_delay_alu instid0(VALU_DEP_1) | instskip(SKIP_1) | instid1(VALU_DEP_1)
	v_add_f64_e32 v[39:40], v[41:42], v[39:40]
	v_fma_f64 v[41:42], v[12:13], s[18:19], -v[148:149]
	v_add_f64_e32 v[37:38], v[41:42], v[37:38]
	v_fma_f64 v[41:42], v[14:15], s[18:19], v[150:151]
	;; [unrolled: 5-line block ×4, first 2 shown]
	s_delay_alu instid0(VALU_DEP_1) | instskip(SKIP_2) | instid1(VALU_DEP_2)
	v_add_f64_e32 v[39:40], v[41:42], v[39:40]
	v_fma_f64 v[41:42], v[82:83], s[18:19], -v[56:57]
	v_fma_f64 v[56:57], v[82:83], s[18:19], v[56:57]
	v_add_f64_e32 v[41:42], v[41:42], v[43:44]
	v_fma_f64 v[43:44], v[84:85], s[18:19], v[160:161]
	s_delay_alu instid0(VALU_DEP_3) | instskip(SKIP_1) | instid1(VALU_DEP_3)
	v_add_f64_e32 v[56:57], v[56:57], v[62:63]
	v_fma_f64 v[62:63], v[84:85], s[18:19], -v[160:161]
	v_add_f64_e32 v[43:44], v[43:44], v[58:59]
	v_mul_f64_e32 v[58:59], s[28:29], v[76:77]
	s_delay_alu instid0(VALU_DEP_3) | instskip(SKIP_1) | instid1(VALU_DEP_3)
	v_add_f64_e32 v[62:63], v[62:63], v[86:87]
	v_fma_f64 v[86:87], v[49:50], s[2:3], v[96:97]
	v_fma_f64 v[47:48], v[49:50], s[20:21], -v[58:59]
	v_fma_f64 v[58:59], v[49:50], s[20:21], v[58:59]
	s_delay_alu instid0(VALU_DEP_2) | instskip(SKIP_1) | instid1(VALU_DEP_3)
	v_add_f64_e32 v[41:42], v[47:48], v[41:42]
	v_fma_f64 v[47:48], v[72:73], s[20:21], v[162:163]
	v_add_f64_e32 v[56:57], v[58:59], v[56:57]
	v_fma_f64 v[58:59], v[72:73], s[20:21], -v[162:163]
	s_delay_alu instid0(VALU_DEP_3) | instskip(SKIP_1) | instid1(VALU_DEP_3)
	v_add_f64_e32 v[43:44], v[47:48], v[43:44]
	v_fma_f64 v[47:48], v[12:13], s[2:3], -v[164:165]
	v_add_f64_e32 v[58:59], v[58:59], v[62:63]
	v_fma_f64 v[62:63], v[12:13], s[2:3], v[164:165]
	s_delay_alu instid0(VALU_DEP_3) | instskip(SKIP_1) | instid1(VALU_DEP_3)
	v_add_f64_e32 v[41:42], v[47:48], v[41:42]
	v_fma_f64 v[47:48], v[14:15], s[2:3], v[166:167]
	v_add_f64_e32 v[56:57], v[62:63], v[56:57]
	v_fma_f64 v[62:63], v[14:15], s[2:3], -v[166:167]
	s_delay_alu instid0(VALU_DEP_3) | instskip(SKIP_1) | instid1(VALU_DEP_3)
	v_add_f64_e32 v[43:44], v[47:48], v[43:44]
	v_fma_f64 v[47:48], v[8:9], s[30:31], -v[168:169]
	v_add_f64_e32 v[58:59], v[62:63], v[58:59]
	v_fma_f64 v[62:63], v[8:9], s[30:31], v[168:169]
	s_delay_alu instid0(VALU_DEP_3) | instskip(SKIP_1) | instid1(VALU_DEP_3)
	;; [unrolled: 10-line block ×3, first 2 shown]
	v_add_f64_e32 v[41:42], v[47:48], v[41:42]
	v_fma_f64 v[47:48], v[2:3], s[14:15], v[174:175]
	v_add_f64_e32 v[56:57], v[62:63], v[56:57]
	v_fma_f64 v[62:63], v[82:83], s[12:13], v[140:141]
                                        ; implicit-def: $vgpr140_vgpr141
	s_delay_alu instid0(VALU_DEP_3) | instskip(SKIP_2) | instid1(VALU_DEP_4)
	v_add_f64_e32 v[43:44], v[47:48], v[43:44]
	v_fma_f64 v[47:48], v[82:83], s[30:31], -v[176:177]
	v_fma_f64 v[176:177], v[82:83], s[30:31], v[176:177]
	v_add_f64_e32 v[60:61], v[62:63], v[60:61]
	v_fma_f64 v[62:63], v[84:85], s[12:13], -v[142:143]
	s_delay_alu instid0(VALU_DEP_4)
	v_add_f64_e32 v[45:46], v[47:48], v[45:46]
	v_fma_f64 v[47:48], v[84:85], s[30:31], v[178:179]
	v_add_f64_e32 v[52:53], v[176:177], v[52:53]
	v_fma_f64 v[176:177], v[84:85], s[30:31], -v[178:179]
	v_add_f64_e32 v[62:63], v[62:63], v[70:71]
	v_fma_f64 v[70:71], v[2:3], s[20:21], -v[158:159]
	v_add_f64_e32 v[47:48], v[47:48], v[64:65]
	v_mul_f64_e32 v[64:65], s[22:23], v[76:77]
	v_add_f64_e32 v[54:55], v[176:177], v[54:55]
	v_mul_f64_e32 v[76:77], s[26:27], v[76:77]
	s_delay_alu instid0(VALU_DEP_3) | instskip(SKIP_1) | instid1(VALU_DEP_2)
	v_fma_f64 v[180:181], v[49:50], s[12:13], -v[64:65]
	v_fma_f64 v[64:65], v[49:50], s[12:13], v[64:65]
	v_add_f64_e32 v[45:46], v[180:181], v[45:46]
	v_mul_f64_e32 v[180:181], s[22:23], v[74:75]
	s_delay_alu instid0(VALU_DEP_3) | instskip(SKIP_1) | instid1(VALU_DEP_3)
	v_add_f64_e32 v[52:53], v[64:65], v[52:53]
	v_mul_f64_e32 v[74:75], s[26:27], v[74:75]
	v_fma_f64 v[182:183], v[72:73], s[12:13], v[180:181]
	v_fma_f64 v[64:65], v[72:73], s[12:13], -v[180:181]
                                        ; implicit-def: $vgpr180_vgpr181
	s_delay_alu instid0(VALU_DEP_2) | instskip(SKIP_1) | instid1(VALU_DEP_3)
	v_add_f64_e32 v[47:48], v[182:183], v[47:48]
	v_mul_f64_e32 v[182:183], s[40:41], v[22:23]
	v_add_f64_e32 v[54:55], v[64:65], v[54:55]
	v_mul_f64_e32 v[22:23], s[24:25], v[22:23]
	s_delay_alu instid0(VALU_DEP_3) | instskip(SKIP_1) | instid1(VALU_DEP_2)
	v_fma_f64 v[184:185], v[12:13], s[20:21], -v[182:183]
	v_fma_f64 v[64:65], v[12:13], s[20:21], v[182:183]
	v_add_f64_e32 v[45:46], v[184:185], v[45:46]
	v_mul_f64_e32 v[184:185], s[40:41], v[20:21]
	s_delay_alu instid0(VALU_DEP_3) | instskip(SKIP_1) | instid1(VALU_DEP_3)
	v_add_f64_e32 v[52:53], v[64:65], v[52:53]
	v_mul_f64_e32 v[20:21], s[24:25], v[20:21]
	v_fma_f64 v[186:187], v[14:15], s[20:21], v[184:185]
	v_fma_f64 v[64:65], v[14:15], s[20:21], -v[184:185]
	s_delay_alu instid0(VALU_DEP_2) | instskip(SKIP_1) | instid1(VALU_DEP_3)
	v_add_f64_e32 v[47:48], v[186:187], v[47:48]
	v_mul_f64_e32 v[186:187], s[24:25], v[18:19]
	v_add_f64_e32 v[54:55], v[64:65], v[54:55]
	v_mul_f64_e32 v[18:19], s[22:23], v[18:19]
	s_delay_alu instid0(VALU_DEP_3) | instskip(SKIP_1) | instid1(VALU_DEP_2)
	v_fma_f64 v[188:189], v[8:9], s[14:15], -v[186:187]
	v_fma_f64 v[64:65], v[8:9], s[14:15], v[186:187]
	v_add_f64_e32 v[45:46], v[188:189], v[45:46]
	v_mul_f64_e32 v[188:189], s[24:25], v[16:17]
	s_delay_alu instid0(VALU_DEP_3) | instskip(SKIP_1) | instid1(VALU_DEP_3)
	v_add_f64_e32 v[52:53], v[64:65], v[52:53]
	v_mul_f64_e32 v[16:17], s[22:23], v[16:17]
	v_fma_f64 v[190:191], v[10:11], s[14:15], v[188:189]
	v_fma_f64 v[64:65], v[10:11], s[14:15], -v[188:189]
	s_delay_alu instid0(VALU_DEP_2) | instskip(SKIP_1) | instid1(VALU_DEP_3)
	v_add_f64_e32 v[47:48], v[190:191], v[47:48]
	v_mul_f64_e32 v[190:191], s[36:37], v[6:7]
	v_add_f64_e32 v[54:55], v[64:65], v[54:55]
	s_delay_alu instid0(VALU_DEP_2) | instskip(SKIP_1) | instid1(VALU_DEP_2)
	v_fma_f64 v[64:65], v[0:1], s[18:19], v[190:191]
	v_fma_f64 v[192:193], v[0:1], s[18:19], -v[190:191]
	v_add_f64_e32 v[52:53], v[64:65], v[52:53]
	v_fma_f64 v[64:65], v[2:3], s[14:15], -v[174:175]
	s_delay_alu instid0(VALU_DEP_3) | instskip(SKIP_1) | instid1(VALU_DEP_3)
	v_add_f64_e32 v[45:46], v[192:193], v[45:46]
	v_mul_f64_e32 v[192:193], s[36:37], v[4:5]
	v_add_f64_e32 v[58:59], v[64:65], v[58:59]
	v_fma_f64 v[64:65], v[49:50], s[30:31], v[144:145]
	s_delay_alu instid0(VALU_DEP_3) | instskip(SKIP_1) | instid1(VALU_DEP_3)
	v_fma_f64 v[194:195], v[2:3], s[18:19], v[192:193]
	v_fma_f64 v[176:177], v[2:3], s[18:19], -v[192:193]
                                        ; implicit-def: $vgpr144_vgpr145
	v_add_f64_e32 v[60:61], v[64:65], v[60:61]
	v_fma_f64 v[64:65], v[72:73], s[30:31], -v[146:147]
	s_delay_alu instid0(VALU_DEP_4) | instskip(NEXT) | instid1(VALU_DEP_4)
	v_add_f64_e32 v[47:48], v[194:195], v[47:48]
	v_add_f64_e32 v[54:55], v[176:177], v[54:55]
                                        ; implicit-def: $vgpr176_vgpr177
	s_delay_alu instid0(VALU_DEP_3) | instskip(SKIP_1) | instid1(VALU_DEP_1)
	v_add_f64_e32 v[62:63], v[64:65], v[62:63]
	v_fma_f64 v[64:65], v[12:13], s[18:19], v[148:149]
                                        ; implicit-def: $vgpr148_vgpr149
	v_add_f64_e32 v[60:61], v[64:65], v[60:61]
	v_fma_f64 v[64:65], v[14:15], s[18:19], -v[150:151]
	s_delay_alu instid0(VALU_DEP_1) | instskip(SKIP_1) | instid1(VALU_DEP_1)
	v_add_f64_e32 v[62:63], v[64:65], v[62:63]
	v_fma_f64 v[64:65], v[8:9], s[2:3], v[152:153]
	v_add_f64_e32 v[60:61], v[64:65], v[60:61]
	v_fma_f64 v[64:65], v[10:11], s[2:3], -v[154:155]
	s_delay_alu instid0(VALU_DEP_1) | instskip(SKIP_1) | instid1(VALU_DEP_2)
	v_add_f64_e32 v[62:63], v[64:65], v[62:63]
	v_fma_f64 v[64:65], v[0:1], s[20:21], v[156:157]
	v_add_f64_e32 v[62:63], v[70:71], v[62:63]
	s_delay_alu instid0(VALU_DEP_2) | instskip(SKIP_2) | instid1(VALU_DEP_2)
	v_add_f64_e32 v[60:61], v[64:65], v[60:61]
	v_fma_f64 v[64:65], v[82:83], s[2:3], v[120:121]
	v_fma_f64 v[70:71], v[2:3], s[12:13], -v[138:139]
	v_add_f64_e32 v[64:65], v[64:65], v[66:67]
	v_fma_f64 v[66:67], v[84:85], s[2:3], -v[122:123]
	s_delay_alu instid0(VALU_DEP_1) | instskip(SKIP_1) | instid1(VALU_DEP_1)
	v_add_f64_e32 v[66:67], v[66:67], v[68:69]
	v_fma_f64 v[68:69], v[49:50], s[14:15], v[124:125]
	v_add_f64_e32 v[64:65], v[68:69], v[64:65]
	v_fma_f64 v[68:69], v[72:73], s[14:15], -v[126:127]
	s_delay_alu instid0(VALU_DEP_1) | instskip(SKIP_1) | instid1(VALU_DEP_1)
	v_add_f64_e32 v[66:67], v[68:69], v[66:67]
	v_fma_f64 v[68:69], v[12:13], s[30:31], v[128:129]
	;; [unrolled: 5-line block ×3, first 2 shown]
	v_add_f64_e32 v[64:65], v[68:69], v[64:65]
	v_fma_f64 v[68:69], v[10:11], s[20:21], -v[134:135]
	s_delay_alu instid0(VALU_DEP_1) | instskip(SKIP_1) | instid1(VALU_DEP_2)
	v_add_f64_e32 v[66:67], v[68:69], v[66:67]
	v_fma_f64 v[68:69], v[0:1], s[12:13], v[136:137]
	v_add_f64_e32 v[66:67], v[70:71], v[66:67]
	s_delay_alu instid0(VALU_DEP_2) | instskip(SKIP_3) | instid1(VALU_DEP_3)
	v_add_f64_e32 v[64:65], v[68:69], v[64:65]
	v_fma_f64 v[68:69], v[82:83], s[14:15], v[92:93]
	v_fma_f64 v[70:71], v[84:85], s[14:15], -v[94:95]
	v_mul_f64_e32 v[92:93], s[16:17], v[4:5]
	v_add_f64_e32 v[68:69], v[68:69], v[90:91]
	s_delay_alu instid0(VALU_DEP_3) | instskip(SKIP_1) | instid1(VALU_DEP_3)
	v_add_f64_e32 v[70:71], v[70:71], v[106:107]
	v_fma_f64 v[90:91], v[2:3], s[30:31], -v[118:119]
	v_add_f64_e32 v[68:69], v[86:87], v[68:69]
	v_fma_f64 v[86:87], v[72:73], s[2:3], -v[98:99]
	s_delay_alu instid0(VALU_DEP_1) | instskip(SKIP_1) | instid1(VALU_DEP_1)
	v_add_f64_e32 v[70:71], v[86:87], v[70:71]
	v_fma_f64 v[86:87], v[12:13], s[12:13], v[108:109]
	v_add_f64_e32 v[68:69], v[86:87], v[68:69]
	v_fma_f64 v[86:87], v[14:15], s[12:13], -v[110:111]
	s_delay_alu instid0(VALU_DEP_1) | instskip(SKIP_1) | instid1(VALU_DEP_1)
	v_add_f64_e32 v[70:71], v[86:87], v[70:71]
	v_fma_f64 v[86:87], v[8:9], s[18:19], v[112:113]
	v_add_f64_e32 v[68:69], v[86:87], v[68:69]
	v_fma_f64 v[86:87], v[10:11], s[18:19], -v[114:115]
	s_delay_alu instid0(VALU_DEP_1) | instskip(SKIP_1) | instid1(VALU_DEP_2)
	v_add_f64_e32 v[70:71], v[86:87], v[70:71]
	v_fma_f64 v[86:87], v[0:1], s[30:31], v[116:117]
	v_add_f64_e32 v[70:71], v[90:91], v[70:71]
	s_delay_alu instid0(VALU_DEP_2) | instskip(SKIP_4) | instid1(VALU_DEP_4)
	v_add_f64_e32 v[68:69], v[86:87], v[68:69]
	v_fma_f64 v[86:87], v[82:83], s[20:21], -v[80:81]
	v_fma_f64 v[90:91], v[84:85], s[20:21], v[78:79]
	v_fma_f64 v[80:81], v[82:83], s[20:21], v[80:81]
	v_fma_f64 v[78:79], v[84:85], s[20:21], -v[78:79]
	v_add_f64_e32 v[86:87], v[86:87], v[100:101]
	s_delay_alu instid0(VALU_DEP_4) | instskip(SKIP_3) | instid1(VALU_DEP_3)
	v_add_f64_e32 v[88:89], v[90:91], v[88:89]
	v_fma_f64 v[90:91], v[49:50], s[18:19], -v[76:77]
	v_fma_f64 v[49:50], v[49:50], s[18:19], v[76:77]
	v_add_f64_e32 v[76:77], v[78:79], v[104:105]
	v_add_f64_e32 v[86:87], v[90:91], v[86:87]
	v_fma_f64 v[90:91], v[72:73], s[18:19], v[74:75]
	v_fma_f64 v[72:73], v[72:73], s[18:19], -v[74:75]
	v_add_f64_e32 v[74:75], v[80:81], v[102:103]
	s_delay_alu instid0(VALU_DEP_3) | instskip(SKIP_3) | instid1(VALU_DEP_3)
	v_add_f64_e32 v[88:89], v[90:91], v[88:89]
	v_fma_f64 v[90:91], v[12:13], s[14:15], -v[22:23]
	v_fma_f64 v[12:13], v[12:13], s[14:15], v[22:23]
	v_add_f64_e32 v[22:23], v[72:73], v[76:77]
	v_add_f64_e32 v[86:87], v[90:91], v[86:87]
	v_fma_f64 v[90:91], v[14:15], s[14:15], v[20:21]
	v_fma_f64 v[14:15], v[14:15], s[14:15], -v[20:21]
	v_add_f64_e32 v[20:21], v[49:50], v[74:75]
	s_delay_alu instid0(VALU_DEP_3) | instskip(SKIP_2) | instid1(VALU_DEP_4)
	v_add_f64_e32 v[88:89], v[90:91], v[88:89]
	v_fma_f64 v[90:91], v[8:9], s[12:13], -v[18:19]
	v_fma_f64 v[8:9], v[8:9], s[12:13], v[18:19]
	v_add_f64_e32 v[12:13], v[12:13], v[20:21]
	v_add_f64_e32 v[14:15], v[14:15], v[22:23]
	s_delay_alu instid0(VALU_DEP_4) | instskip(SKIP_3) | instid1(VALU_DEP_3)
	v_add_f64_e32 v[86:87], v[90:91], v[86:87]
	v_fma_f64 v[90:91], v[10:11], s[12:13], v[16:17]
	v_fma_f64 v[10:11], v[10:11], s[12:13], -v[16:17]
	v_add_f64_e32 v[8:9], v[8:9], v[12:13]
	v_add_f64_e32 v[88:89], v[90:91], v[88:89]
	v_mul_f64_e32 v[90:91], s[16:17], v[6:7]
	v_fma_f64 v[6:7], v[2:3], s[2:3], v[92:93]
	v_fma_f64 v[2:3], v[2:3], s[2:3], -v[92:93]
	v_add_f64_e32 v[10:11], v[10:11], v[14:15]
	s_delay_alu instid0(VALU_DEP_4) | instskip(SKIP_2) | instid1(VALU_DEP_4)
	v_fma_f64 v[4:5], v[0:1], s[2:3], -v[90:91]
	v_fma_f64 v[0:1], v[0:1], s[2:3], v[90:91]
	v_add_f64_e32 v[6:7], v[6:7], v[88:89]
	v_add_f64_e32 v[74:75], v[2:3], v[10:11]
	v_add_co_u32 v188, s2, s8, v255
	s_wait_alu 0xf1ff
	v_add_co_ci_u32_e64 v189, null, s9, 0, s2
	v_add_f64_e32 v[4:5], v[4:5], v[86:87]
	v_add_f64_e32 v[72:73], v[0:1], v[8:9]
	v_mul_lo_u16 v0, v24, 13
	s_delay_alu instid0(VALU_DEP_1) | instskip(NEXT) | instid1(VALU_DEP_1)
	v_and_b32_e32 v0, 0xffff, v0
	v_lshl_add_u32 v50, v0, 4, v197
	ds_store_b128 v50, v[29:32] offset:32
	ds_store_b128 v50, v[33:36] offset:48
	;; [unrolled: 1-line block ×11, first 2 shown]
	ds_store_b128 v50, v[25:28]
	ds_store_b128 v50, v[72:75] offset:192
	global_wb scope:SCOPE_SE
	s_wait_dscnt 0x0
	s_barrier_signal -1
	s_barrier_wait -1
	global_inv scope:SCOPE_SE
	ds_load_b128 v[96:99], v51
	ds_load_b128 v[76:79], v51 offset:1248
	ds_load_b128 v[156:159], v51 offset:2704
	;; [unrolled: 1-line block ×11, first 2 shown]
	s_and_saveexec_b32 s2, vcc_lo
	s_cbranch_execz .LBB0_3
; %bb.2:
	ds_load_b128 v[72:75], v51 offset:2496
	ds_load_b128 v[148:151], v51 offset:5200
	;; [unrolled: 1-line block ×6, first 2 shown]
.LBB0_3:
	s_wait_alu 0xfffe
	s_or_b32 exec_lo, exec_lo, s2
	v_and_b32_e32 v0, 0xff, v196
	v_add_nc_u16 v1, v196, 0x4e
	v_add_nc_u16 v3, v196, 0x9c
	s_mov_b32 s2, 0xe8584caa
	s_mov_b32 s3, 0x3febb67a
	v_mul_lo_u16 v0, 0x4f, v0
	v_and_b32_e32 v2, 0xff, v1
	s_mov_b32 s13, 0xbfebb67a
	s_wait_alu 0xfffe
	s_mov_b32 s12, s2
	v_lshrrev_b16 v52, 10, v0
	v_mul_lo_u16 v0, 0x4f, v2
	v_and_b32_e32 v2, 0xff, v3
	s_delay_alu instid0(VALU_DEP_3) | instskip(NEXT) | instid1(VALU_DEP_3)
	v_mul_lo_u16 v4, v52, 13
	v_lshrrev_b16 v8, 10, v0
	s_delay_alu instid0(VALU_DEP_3) | instskip(SKIP_1) | instid1(VALU_DEP_4)
	v_mul_lo_u16 v0, 0x4f, v2
	v_and_b32_e32 v52, 0xffff, v52
	v_sub_nc_u16 v2, v196, v4
	s_delay_alu instid0(VALU_DEP_4) | instskip(NEXT) | instid1(VALU_DEP_4)
	v_mul_lo_u16 v4, v8, 13
	v_lshrrev_b16 v0, 10, v0
	s_delay_alu instid0(VALU_DEP_4) | instskip(SKIP_4) | instid1(VALU_DEP_4)
	v_mul_u32_u24_e32 v52, 0x4e, v52
	v_and_b32_e32 v8, 0xffff, v8
	v_and_b32_e32 v9, 0xff, v2
	v_sub_nc_u16 v2, v1, v4
	v_mul_lo_u16 v4, v0, 13
	v_mul_u32_u24_e32 v8, 0x4e, v8
	s_delay_alu instid0(VALU_DEP_4) | instskip(NEXT) | instid1(VALU_DEP_3)
	v_mad_co_u64_u32 v[0:1], null, 0x50, v9, s[10:11]
	v_sub_nc_u16 v4, v3, v4
	v_and_b32_e32 v53, 0xff, v2
	v_add_nc_u32_e32 v9, v52, v9
	s_delay_alu instid0(VALU_DEP_3)
	v_and_b32_e32 v4, 0xff, v4
	s_clause 0x1
	global_load_b128 v[120:123], v[0:1], off offset:32
	global_load_b128 v[124:127], v[0:1], off offset:64
	v_mad_co_u64_u32 v[2:3], null, 0x50, v53, s[10:11]
	scratch_store_b32 off, v4, off offset:304 ; 4-byte Folded Spill
	v_mad_co_u64_u32 v[4:5], null, 0x50, v4, s[10:11]
	v_add_nc_u32_e32 v8, v8, v53
	s_clause 0xc
	global_load_b128 v[108:111], v[2:3], off offset:32
	global_load_b128 v[112:115], v[2:3], off offset:64
	;; [unrolled: 1-line block ×4, first 2 shown]
	global_load_b128 v[88:91], v[0:1], off
	global_load_b128 v[80:83], v[2:3], off
	;; [unrolled: 1-line block ×3, first 2 shown]
	global_load_b128 v[104:107], v[0:1], off offset:16
	global_load_b128 v[100:103], v[0:1], off offset:48
	;; [unrolled: 1-line block ×6, first 2 shown]
	scratch_load_b32 v52, off, off          ; 4-byte Folded Reload
	s_wait_loadcnt_dscnt 0xd04
	v_mul_f64_e32 v[10:11], v[162:163], v[110:111]
	v_mul_f64_e32 v[0:1], v[170:171], v[122:123]
	;; [unrolled: 1-line block ×3, first 2 shown]
	s_wait_dscnt 0x1
	v_mul_f64_e32 v[4:5], v[172:173], v[126:127]
	v_mul_f64_e32 v[6:7], v[174:175], v[126:127]
	;; [unrolled: 1-line block ×3, first 2 shown]
	s_wait_loadcnt_dscnt 0xc00
	v_mul_f64_e32 v[14:15], v[164:165], v[114:115]
	v_mul_f64_e32 v[16:17], v[166:167], v[114:115]
	s_wait_loadcnt 0xb
	v_mul_f64_e32 v[18:19], v[178:179], v[40:41]
	v_mul_f64_e32 v[20:21], v[176:177], v[40:41]
	s_wait_loadcnt 0xa
	;; [unrolled: 3-line block ×5, first 2 shown]
	v_mul_f64_e32 v[34:35], v[150:151], v[58:59]
	v_mul_f64_e32 v[36:37], v[148:149], v[58:59]
	scratch_store_b128 off, v[38:41], off offset:372 ; 16-byte Folded Spill
	s_wait_loadcnt 0x6
	v_mul_f64_e32 v[40:41], v[132:133], v[106:107]
	s_wait_loadcnt 0x5
	v_mul_f64_e32 v[42:43], v[138:139], v[102:103]
	v_mul_f64_e32 v[44:45], v[136:137], v[102:103]
	s_wait_loadcnt 0x0
	v_lshl_add_u32 v241, v9, 4, v52
	v_lshl_add_u32 v232, v8, 4, v52
	v_fma_f64 v[10:11], v[160:161], v[108:109], -v[10:11]
	v_fma_f64 v[0:1], v[168:169], v[120:121], -v[0:1]
	v_fma_f64 v[2:3], v[170:171], v[120:121], v[2:3]
	v_fma_f64 v[4:5], v[174:175], v[124:125], v[4:5]
	v_fma_f64 v[6:7], v[172:173], v[124:125], -v[6:7]
	v_fma_f64 v[12:13], v[162:163], v[108:109], v[12:13]
	v_fma_f64 v[14:15], v[166:167], v[112:113], v[14:15]
	v_fma_f64 v[16:17], v[164:165], v[112:113], -v[16:17]
	v_fma_f64 v[18:19], v[176:177], v[38:39], -v[18:19]
	v_fma_f64 v[20:21], v[178:179], v[38:39], v[20:21]
	v_fma_f64 v[22:23], v[182:183], v[60:61], v[22:23]
	v_fma_f64 v[24:25], v[180:181], v[60:61], -v[24:25]
	v_mul_f64_e32 v[38:39], v[134:135], v[106:107]
	v_fma_f64 v[26:27], v[156:157], v[88:89], -v[26:27]
	v_fma_f64 v[28:29], v[158:159], v[88:89], v[28:29]
	v_mul_f64_e32 v[156:157], v[118:119], v[94:95]
	v_mul_f64_e32 v[158:159], v[116:117], v[94:95]
	;; [unrolled: 1-line block ×4, first 2 shown]
	v_fma_f64 v[30:31], v[152:153], v[80:81], -v[30:31]
	v_fma_f64 v[32:33], v[154:155], v[80:81], v[32:33]
	v_mul_f64_e32 v[164:165], v[142:143], v[70:71]
	v_mul_f64_e32 v[166:167], v[140:141], v[70:71]
	;; [unrolled: 1-line block ×4, first 2 shown]
	v_fma_f64 v[34:35], v[148:149], v[56:57], -v[34:35]
	v_fma_f64 v[36:37], v[150:151], v[56:57], v[36:37]
	v_fma_f64 v[40:41], v[134:135], v[104:105], v[40:41]
	v_fma_f64 v[42:43], v[136:137], v[100:101], -v[42:43]
	v_fma_f64 v[44:45], v[138:139], v[100:101], v[44:45]
	v_add_f64_e32 v[46:47], v[2:3], v[4:5]
	v_add_f64_e32 v[48:49], v[0:1], v[6:7]
	v_add_f64_e64 v[134:135], v[0:1], -v[6:7]
	v_add_f64_e32 v[152:153], v[12:13], v[14:15]
	v_add_f64_e32 v[154:155], v[10:11], v[16:17]
	v_add_f64_e64 v[136:137], v[12:13], -v[14:15]
	v_add_f64_e64 v[138:139], v[10:11], -v[16:17]
	v_add_f64_e32 v[148:149], v[20:21], v[22:23]
	v_add_f64_e32 v[150:151], v[18:19], v[24:25]
	v_fma_f64 v[38:39], v[132:133], v[104:105], -v[38:39]
	v_add_f64_e64 v[132:133], v[2:3], -v[4:5]
	v_add_f64_e32 v[0:1], v[26:27], v[0:1]
	v_fma_f64 v[116:117], v[116:117], v[92:93], -v[156:157]
	v_fma_f64 v[118:119], v[118:119], v[92:93], v[158:159]
	v_fma_f64 v[128:129], v[128:129], v[84:85], -v[160:161]
	v_fma_f64 v[130:131], v[130:131], v[84:85], v[162:163]
	v_add_f64_e64 v[156:157], v[20:21], -v[22:23]
	v_add_f64_e64 v[158:159], v[18:19], -v[24:25]
	v_fma_f64 v[140:141], v[140:141], v[68:69], -v[164:165]
	v_fma_f64 v[142:143], v[142:143], v[68:69], v[166:167]
	v_fma_f64 v[144:145], v[144:145], v[64:65], -v[168:169]
	v_fma_f64 v[146:147], v[146:147], v[64:65], v[170:171]
	v_add_f64_e32 v[2:3], v[28:29], v[2:3]
	v_add_f64_e32 v[10:11], v[30:31], v[10:11]
	;; [unrolled: 1-line block ×6, first 2 shown]
	v_fma_f64 v[46:47], v[46:47], -0.5, v[28:29]
	v_fma_f64 v[48:49], v[48:49], -0.5, v[26:27]
	;; [unrolled: 1-line block ×6, first 2 shown]
	v_add_f64_e32 v[160:161], v[38:39], v[42:43]
	v_add_f64_e64 v[36:37], v[38:39], -v[42:43]
	v_add_f64_e32 v[26:27], v[76:77], v[116:117]
	v_add_f64_e32 v[28:29], v[78:79], v[118:119]
	;; [unrolled: 1-line block ×4, first 2 shown]
	s_wait_alu 0xfffe
	v_fma_f64 v[164:165], v[134:135], s[12:13], v[46:47]
	v_fma_f64 v[166:167], v[132:133], s[12:13], v[48:49]
	;; [unrolled: 1-line block ×4, first 2 shown]
	v_add_f64_e32 v[132:133], v[116:117], v[128:129]
	v_add_f64_e32 v[134:135], v[118:119], v[130:131]
	v_fma_f64 v[168:169], v[138:139], s[12:13], v[152:153]
	v_fma_f64 v[170:171], v[136:137], s[12:13], v[154:155]
	;; [unrolled: 1-line block ×4, first 2 shown]
	v_add_f64_e32 v[152:153], v[140:141], v[144:145]
	v_add_f64_e32 v[154:155], v[142:143], v[146:147]
	v_fma_f64 v[172:173], v[158:159], s[12:13], v[148:149]
	v_fma_f64 v[174:175], v[156:157], s[12:13], v[150:151]
	;; [unrolled: 1-line block ×4, first 2 shown]
	v_add_f64_e32 v[156:157], v[96:97], v[38:39]
	v_add_f64_e64 v[158:159], v[40:41], -v[44:45]
	v_add_f64_e32 v[40:41], v[98:99], v[40:41]
	v_fma_f64 v[34:35], v[160:161], -0.5, v[96:97]
	v_fma_f64 v[38:39], v[162:163], -0.5, v[98:99]
	v_add_f64_e64 v[96:97], v[118:119], -v[130:131]
	v_add_f64_e64 v[116:117], v[116:117], -v[128:129]
	;; [unrolled: 1-line block ×3, first 2 shown]
	v_add_f64_e32 v[26:27], v[26:27], v[128:129]
	v_add_f64_e32 v[28:29], v[28:29], v[130:131]
	;; [unrolled: 1-line block ×4, first 2 shown]
	v_mul_f64_e32 v[98:99], s[2:3], v[164:165]
	v_mul_f64_e32 v[118:119], -0.5, v[166:167]
	v_mul_f64_e32 v[160:161], s[12:13], v[48:49]
	v_mul_f64_e32 v[162:163], -0.5, v[46:47]
	v_fma_f64 v[76:77], v[132:133], -0.5, v[76:77]
	v_fma_f64 v[78:79], v[134:135], -0.5, v[78:79]
	v_add_f64_e64 v[132:133], v[142:143], -v[146:147]
	v_mul_f64_e32 v[134:135], s[2:3], v[168:169]
	v_mul_f64_e32 v[142:143], -0.5, v[170:171]
	v_mul_f64_e32 v[176:177], s[12:13], v[136:137]
	v_fma_f64 v[72:73], v[152:153], -0.5, v[72:73]
	v_fma_f64 v[74:75], v[154:155], -0.5, v[74:75]
	v_mul_f64_e32 v[152:153], s[2:3], v[172:173]
	v_mul_f64_e32 v[154:155], -0.5, v[174:175]
	v_mul_f64_e32 v[180:181], s[12:13], v[150:151]
	v_mul_f64_e32 v[182:183], -0.5, v[148:149]
	v_add_f64_e32 v[42:43], v[156:157], v[42:43]
	v_add_f64_e32 v[156:157], v[2:3], v[4:5]
	;; [unrolled: 1-line block ×8, first 2 shown]
	v_fma_f64 v[144:145], v[158:159], s[2:3], v[34:35]
	v_fma_f64 v[146:147], v[158:159], s[12:13], v[34:35]
	v_fma_f64 v[158:159], v[36:37], s[12:13], v[38:39]
	v_fma_f64 v[184:185], v[36:37], s[2:3], v[38:39]
	v_add_f64_e32 v[18:19], v[26:27], v[128:129]
	v_add_f64_e32 v[20:21], v[28:29], v[130:131]
	v_add_f64_e64 v[22:23], v[26:27], -v[128:129]
	v_add_f64_e64 v[24:25], v[28:29], -v[130:131]
	v_mul_f64_e32 v[178:179], -0.5, v[138:139]
	v_fma_f64 v[34:35], v[48:49], 0.5, v[98:99]
	v_fma_f64 v[36:37], v[46:47], s[2:3], v[118:119]
	v_fma_f64 v[46:47], v[164:165], 0.5, v[160:161]
	v_fma_f64 v[48:49], v[166:167], s[12:13], v[162:163]
	v_fma_f64 v[98:99], v[96:97], s[2:3], v[76:77]
	;; [unrolled: 1-line block ×5, first 2 shown]
	v_fma_f64 v[116:117], v[136:137], 0.5, v[134:135]
	v_fma_f64 v[118:119], v[138:139], s[2:3], v[142:143]
	v_fma_f64 v[136:137], v[168:169], 0.5, v[176:177]
	v_fma_f64 v[142:143], v[132:133], s[2:3], v[72:73]
	v_fma_f64 v[160:161], v[132:133], s[12:13], v[72:73]
	;; [unrolled: 1-line block ×4, first 2 shown]
	v_fma_f64 v[140:141], v[150:151], 0.5, v[152:153]
	v_fma_f64 v[148:149], v[148:149], s[2:3], v[154:155]
	v_fma_f64 v[150:151], v[172:173], 0.5, v[180:181]
	v_fma_f64 v[152:153], v[174:175], s[12:13], v[182:183]
	v_add_f64_e32 v[10:11], v[42:43], v[44:45]
	v_add_f64_e64 v[14:15], v[42:43], -v[44:45]
	v_add_f64_e32 v[12:13], v[40:41], v[156:157]
	v_add_f64_e64 v[26:27], v[0:1], -v[2:3]
	v_add_f64_e64 v[28:29], v[4:5], -v[6:7]
	;; [unrolled: 1-line block ×3, first 2 shown]
	v_fma_f64 v[138:139], v[170:171], s[12:13], v[178:179]
	v_add_f64_e32 v[30:31], v[146:147], v[36:37]
	v_add_f64_e64 v[38:39], v[146:147], -v[36:37]
	v_add_f64_e64 v[36:37], v[158:159], -v[46:47]
	v_add_f64_e32 v[32:33], v[184:185], v[48:49]
	v_add_f64_e64 v[40:41], v[184:185], -v[48:49]
	v_add_f64_e32 v[42:43], v[98:99], v[116:117]
	;; [unrolled: 2-line block ×4, first 2 shown]
	v_add_f64_e32 v[116:117], v[160:161], v[148:149]
	v_add_f64_e32 v[98:99], v[162:163], v[150:151]
	scratch_store_b128 off, v[26:29], off offset:20 ; 16-byte Folded Spill
	v_add_f64_e32 v[28:29], v[158:159], v[46:47]
	v_add_f64_e32 v[46:47], v[76:77], v[118:119]
	v_add_f64_e64 v[76:77], v[76:77], -v[118:119]
	v_add_f64_e32 v[118:119], v[164:165], v[152:153]
	v_add_f64_e32 v[26:27], v[144:145], v[34:35]
	v_add_f64_e64 v[34:35], v[144:145], -v[34:35]
	v_add_f64_e32 v[48:49], v[78:79], v[138:139]
	v_add_f64_e64 v[78:79], v[78:79], -v[138:139]
	scratch_store_b128 off, v[96:99], off offset:4 ; 16-byte Folded Spill
	v_add_f64_e64 v[96:97], v[142:143], -v[140:141]
	v_add_f64_e64 v[98:99], v[162:163], -v[150:151]
	scratch_store_b128 off, v[116:119], off offset:36 ; 16-byte Folded Spill
	v_add_f64_e64 v[116:117], v[160:161], -v[148:149]
	v_add_f64_e64 v[118:119], v[164:165], -v[152:153]
	s_clause 0x1
	scratch_store_b128 off, v[96:99], off offset:52
	scratch_store_b128 off, v[116:119], off offset:68
	global_wb scope:SCOPE_SE
	s_wait_storecnt 0x0
	s_barrier_signal -1
	s_barrier_wait -1
	global_inv scope:SCOPE_SE
	ds_store_b128 v241, v[10:13]
	ds_store_b128 v241, v[26:29] offset:208
	ds_store_b128 v241, v[30:33] offset:416
	;; [unrolled: 1-line block ×5, first 2 shown]
	ds_store_b128 v232, v[18:21]
	ds_store_b128 v232, v[42:45] offset:208
	ds_store_b128 v232, v[46:49] offset:416
	;; [unrolled: 1-line block ×5, first 2 shown]
	s_and_saveexec_b32 s2, vcc_lo
	s_cbranch_execz .LBB0_5
; %bb.4:
	v_add_f64_e32 v[2:3], v[0:1], v[2:3]
	s_clause 0x1
	scratch_load_b32 v0, off, off
	scratch_load_b32 v1, off, off offset:304
	v_add_f64_e32 v[4:5], v[4:5], v[6:7]
	scratch_load_b128 v[6:9], off, off offset:36 ; 16-byte Folded Reload
	s_wait_loadcnt 0x1
	v_lshl_add_u32 v0, v1, 4, v0
	s_wait_loadcnt 0x0
	ds_store_b128 v0, v[6:9] offset:15392
	scratch_load_b128 v[6:9], off, off offset:20 ; 16-byte Folded Reload
	s_wait_loadcnt 0x0
	ds_store_b128 v0, v[6:9] offset:15600
	ds_store_b128 v0, v[2:5] offset:14976
	scratch_load_b128 v[1:4], off, off offset:4 ; 16-byte Folded Reload
	s_wait_loadcnt 0x0
	ds_store_b128 v0, v[1:4] offset:15184
	scratch_load_b128 v[1:4], off, off offset:52 ; 16-byte Folded Reload
	s_wait_loadcnt 0x0
	;; [unrolled: 3-line block ×3, first 2 shown]
	ds_store_b128 v0, v[1:4] offset:16016
.LBB0_5:
	s_wait_alu 0xfffe
	s_or_b32 exec_lo, exec_lo, s2
	v_mad_co_u64_u32 v[0:1], null, 0xc0, v196, s[10:11]
	scratch_store_b32 off, v196, off offset:124 ; 4-byte Folded Spill
	global_wb scope:SCOPE_SE
	s_wait_storecnt_dscnt 0x0
	s_barrier_signal -1
	s_barrier_wait -1
	global_inv scope:SCOPE_SE
	s_mov_b32 s30, 0x4267c47c
	s_clause 0x3
	global_load_b128 v[116:119], v[0:1], off offset:1040
	global_load_b128 v[76:79], v[0:1], off offset:1056
	;; [unrolled: 1-line block ×4, first 2 shown]
	ds_load_b128 v[148:151], v51 offset:1248
	ds_load_b128 v[24:27], v51
	ds_load_b128 v[2:5], v51 offset:2496
	ds_load_b128 v[6:9], v51 offset:3744
	s_mov_b32 s10, 0x24c2f84
	s_mov_b32 s31, 0xbfddbe06
	;; [unrolled: 1-line block ×24, first 2 shown]
	s_wait_alu 0xfffe
	s_mov_b32 s38, s10
	s_mov_b32 s35, 0x3fefc445
	;; [unrolled: 1-line block ×11, first 2 shown]
	s_add_nc_u64 s[8:9], s[8:9], 0x3f60
	s_wait_loadcnt_dscnt 0x303
	v_mul_f64_e32 v[10:11], v[150:151], v[118:119]
	s_wait_loadcnt_dscnt 0x201
	v_mul_f64_e32 v[14:15], v[4:5], v[78:79]
	v_mul_f64_e32 v[16:17], v[2:3], v[78:79]
	v_mul_f64_e32 v[12:13], v[148:149], v[118:119]
	s_delay_alu instid0(VALU_DEP_4) | instskip(NEXT) | instid1(VALU_DEP_4)
	v_fma_f64 v[10:11], v[148:149], v[116:117], -v[10:11]
	v_fma_f64 v[190:191], v[2:3], v[76:77], -v[14:15]
	s_delay_alu instid0(VALU_DEP_4) | instskip(SKIP_4) | instid1(VALU_DEP_3)
	v_fma_f64 v[192:193], v[4:5], v[76:77], v[16:17]
	s_wait_loadcnt_dscnt 0x100
	v_mul_f64_e32 v[2:3], v[8:9], v[74:75]
	v_mul_f64_e32 v[4:5], v[6:7], v[74:75]
	v_fma_f64 v[12:13], v[150:151], v[116:117], v[12:13]
	v_fma_f64 v[194:195], v[6:7], v[72:73], -v[2:3]
	s_delay_alu instid0(VALU_DEP_3)
	v_fma_f64 v[196:197], v[8:9], v[72:73], v[4:5]
	ds_load_b128 v[2:5], v51 offset:4992
	ds_load_b128 v[6:9], v51 offset:6240
	s_clause 0x1
	global_load_b128 v[152:155], v[0:1], off offset:1104
	global_load_b128 v[148:151], v[0:1], off offset:1120
	s_wait_loadcnt_dscnt 0x201
	v_mul_f64_e32 v[14:15], v[4:5], v[98:99]
	s_delay_alu instid0(VALU_DEP_1) | instskip(SKIP_1) | instid1(VALU_DEP_1)
	v_fma_f64 v[198:199], v[2:3], v[96:97], -v[14:15]
	v_mul_f64_e32 v[2:3], v[2:3], v[98:99]
	v_fma_f64 v[200:201], v[4:5], v[96:97], v[2:3]
	s_wait_loadcnt_dscnt 0x100
	v_mul_f64_e32 v[2:3], v[8:9], v[154:155]
	s_delay_alu instid0(VALU_DEP_1) | instskip(SKIP_1) | instid1(VALU_DEP_1)
	v_fma_f64 v[202:203], v[6:7], v[152:153], -v[2:3]
	v_mul_f64_e32 v[2:3], v[6:7], v[154:155]
	v_fma_f64 v[204:205], v[8:9], v[152:153], v[2:3]
	ds_load_b128 v[2:5], v51 offset:7488
	ds_load_b128 v[6:9], v51 offset:8736
	s_clause 0x1
	global_load_b128 v[160:163], v[0:1], off offset:1136
	global_load_b128 v[156:159], v[0:1], off offset:1152
	s_wait_loadcnt_dscnt 0x201
	v_mul_f64_e32 v[14:15], v[4:5], v[150:151]
	s_delay_alu instid0(VALU_DEP_1) | instskip(SKIP_1) | instid1(VALU_DEP_1)
	v_fma_f64 v[206:207], v[2:3], v[148:149], -v[14:15]
	v_mul_f64_e32 v[2:3], v[2:3], v[150:151]
	v_fma_f64 v[208:209], v[4:5], v[148:149], v[2:3]
	s_wait_loadcnt_dscnt 0x100
	v_mul_f64_e32 v[2:3], v[8:9], v[162:163]
	s_delay_alu instid0(VALU_DEP_1) | instskip(SKIP_1) | instid1(VALU_DEP_2)
	v_fma_f64 v[210:211], v[6:7], v[160:161], -v[2:3]
	v_mul_f64_e32 v[2:3], v[6:7], v[162:163]
	v_add_f64_e32 v[138:139], v[206:207], v[210:211]
	s_delay_alu instid0(VALU_DEP_2)
	v_fma_f64 v[212:213], v[8:9], v[160:161], v[2:3]
	ds_load_b128 v[2:5], v51 offset:9984
	ds_load_b128 v[6:9], v51 offset:11232
	s_clause 0x1
	global_load_b128 v[164:167], v[0:1], off offset:1168
	global_load_b128 v[168:171], v[0:1], off offset:1184
	s_wait_loadcnt_dscnt 0x201
	v_mul_f64_e32 v[14:15], v[4:5], v[158:159]
	v_add_f64_e64 v[136:137], v[208:209], -v[212:213]
	s_delay_alu instid0(VALU_DEP_2) | instskip(SKIP_1) | instid1(VALU_DEP_3)
	v_fma_f64 v[214:215], v[2:3], v[156:157], -v[14:15]
	v_mul_f64_e32 v[2:3], v[2:3], v[158:159]
	v_mul_f64_e32 v[140:141], s[2:3], v[136:137]
	s_delay_alu instid0(VALU_DEP_2) | instskip(NEXT) | instid1(VALU_DEP_2)
	v_fma_f64 v[216:217], v[4:5], v[156:157], v[2:3]
	v_fma_f64 v[142:143], v[138:139], s[12:13], -v[140:141]
	s_wait_loadcnt_dscnt 0x100
	v_mul_f64_e32 v[2:3], v[8:9], v[166:167]
	s_delay_alu instid0(VALU_DEP_1) | instskip(SKIP_1) | instid1(VALU_DEP_2)
	v_fma_f64 v[218:219], v[6:7], v[164:165], -v[2:3]
	v_mul_f64_e32 v[2:3], v[6:7], v[166:167]
	v_add_f64_e32 v[249:250], v[198:199], v[218:219]
	s_delay_alu instid0(VALU_DEP_2)
	v_fma_f64 v[220:221], v[8:9], v[164:165], v[2:3]
	ds_load_b128 v[2:5], v51 offset:12480
	ds_load_b128 v[6:9], v51 offset:13728
	s_clause 0x1
	global_load_b128 v[172:175], v[0:1], off offset:1200
	global_load_b128 v[176:179], v[0:1], off offset:1216
	s_wait_loadcnt_dscnt 0x201
	v_mul_f64_e32 v[14:15], v[4:5], v[170:171]
	s_delay_alu instid0(VALU_DEP_1) | instskip(SKIP_1) | instid1(VALU_DEP_1)
	v_fma_f64 v[222:223], v[2:3], v[168:169], -v[14:15]
	v_mul_f64_e32 v[2:3], v[2:3], v[170:171]
	v_fma_f64 v[224:225], v[4:5], v[168:169], v[2:3]
	s_wait_loadcnt_dscnt 0x100
	v_mul_f64_e32 v[0:1], v[8:9], v[174:175]
	s_delay_alu instid0(VALU_DEP_1) | instskip(SKIP_1) | instid1(VALU_DEP_2)
	v_fma_f64 v[226:227], v[6:7], v[172:173], -v[0:1]
	v_mul_f64_e32 v[0:1], v[6:7], v[174:175]
	v_add_f64_e64 v[253:254], v[190:191], -v[226:227]
	s_delay_alu instid0(VALU_DEP_2) | instskip(SKIP_4) | instid1(VALU_DEP_2)
	v_fma_f64 v[228:229], v[8:9], v[172:173], v[0:1]
	ds_load_b128 v[0:3], v51 offset:14976
	s_wait_loadcnt_dscnt 0x0
	v_mul_f64_e32 v[4:5], v[0:1], v[178:179]
	v_add_f64_e64 v[251:252], v[192:193], -v[228:229]
	v_fma_f64 v[230:231], v[2:3], v[176:177], v[4:5]
	v_mul_f64_e32 v[2:3], v[2:3], v[178:179]
	s_delay_alu instid0(VALU_DEP_2) | instskip(NEXT) | instid1(VALU_DEP_2)
	v_add_f64_e32 v[44:45], v[12:13], v[230:231]
	v_fma_f64 v[233:234], v[0:1], v[176:177], -v[2:3]
	v_add_f64_e64 v[0:1], v[12:13], -v[230:231]
	s_delay_alu instid0(VALU_DEP_2) | instskip(NEXT) | instid1(VALU_DEP_2)
	v_add_f64_e32 v[16:17], v[10:11], v[233:234]
	v_mul_f64_e32 v[2:3], s[30:31], v[0:1]
	v_mul_f64_e32 v[14:15], s[10:11], v[0:1]
	;; [unrolled: 1-line block ×6, first 2 shown]
	v_fma_f64 v[18:19], v[16:17], s[28:29], -v[2:3]
	v_fma_f64 v[2:3], v[16:17], s[28:29], v[2:3]
	v_fma_f64 v[36:37], v[16:17], s[16:17], -v[14:15]
	v_fma_f64 v[20:21], v[16:17], s[24:25], -v[4:5]
	v_fma_f64 v[4:5], v[16:17], s[24:25], v[4:5]
	v_fma_f64 v[32:33], v[16:17], s[26:27], -v[6:7]
	v_fma_f64 v[6:7], v[16:17], s[26:27], v[6:7]
	;; [unrolled: 2-line block ×3, first 2 shown]
	v_fma_f64 v[14:15], v[16:17], s[16:17], v[14:15]
	v_fma_f64 v[38:39], v[16:17], s[12:13], -v[0:1]
	v_fma_f64 v[0:1], v[16:17], s[12:13], v[0:1]
	v_add_f64_e64 v[16:17], v[10:11], -v[233:234]
	v_add_f64_e32 v[10:11], v[24:25], v[10:11]
	v_add_f64_e32 v[245:246], v[24:25], v[18:19]
	;; [unrolled: 1-line block ×5, first 2 shown]
	v_mul_f64_e32 v[32:33], s[18:19], v[251:252]
	v_add_f64_e32 v[0:1], v[24:25], v[0:1]
	v_mul_f64_e32 v[22:23], s[30:31], v[16:17]
	v_mul_f64_e32 v[28:29], s[18:19], v[16:17]
	;; [unrolled: 1-line block ×6, first 2 shown]
	scratch_store_b64 off, v[10:11], off offset:308 ; 8-byte Folded Spill
	v_add_f64_e32 v[10:11], v[26:27], v[12:13]
	v_add_f64_e32 v[12:13], v[24:25], v[6:7]
	v_add_f64_e32 v[6:7], v[24:25], v[34:35]
	scratch_store_b64 off, v[2:3], off offset:364 ; 8-byte Folded Spill
	v_add_f64_e32 v[2:3], v[24:25], v[14:15]
	scratch_store_b64 off, v[0:1], off offset:324 ; 8-byte Folded Spill
	v_fma_f64 v[46:47], v[44:45], s[28:29], v[22:23]
	v_fma_f64 v[22:23], v[44:45], s[28:29], -v[22:23]
	v_fma_f64 v[48:49], v[44:45], s[24:25], v[28:29]
	v_fma_f64 v[180:181], v[44:45], s[24:25], -v[28:29]
	v_fma_f64 v[182:183], v[44:45], s[26:27], v[30:31]
	v_fma_f64 v[242:243], v[44:45], s[12:13], v[16:17]
	v_fma_f64 v[235:236], v[44:45], s[26:27], -v[30:31]
	v_fma_f64 v[237:238], v[44:45], s[22:23], v[40:41]
	v_fma_f64 v[40:41], v[44:45], s[22:23], -v[40:41]
	;; [unrolled: 2-line block ×3, first 2 shown]
	v_fma_f64 v[44:45], v[44:45], s[12:13], -v[16:17]
	v_add_f64_e32 v[30:31], v[24:25], v[20:21]
	scratch_store_b64 off, v[2:3], off offset:356 ; 8-byte Folded Spill
	v_add_f64_e32 v[2:3], v[24:25], v[38:39]
	v_add_f64_e32 v[46:47], v[26:27], v[46:47]
	;; [unrolled: 1-line block ×8, first 2 shown]
	v_mul_f64_e32 v[235:236], s[18:19], v[253:254]
	v_add_f64_e32 v[4:5], v[26:27], v[237:238]
	v_add_f64_e32 v[34:35], v[26:27], v[40:41]
	;; [unrolled: 1-line block ×4, first 2 shown]
	scratch_store_b64 off, v[10:11], off offset:316 ; 8-byte Folded Spill
	v_add_f64_e32 v[10:11], v[24:25], v[8:9]
	v_add_f64_e32 v[54:55], v[26:27], v[42:43]
	;; [unrolled: 1-line block ×3, first 2 shown]
	scratch_store_b64 off, v[2:3], off offset:348 ; 8-byte Folded Spill
	v_add_f64_e32 v[2:3], v[26:27], v[242:243]
	v_add_f64_e32 v[243:244], v[190:191], v[226:227]
	s_clause 0x1
	scratch_store_b64 off, v[0:1], off offset:332
	scratch_store_b64 off, v[2:3], off offset:340
	v_fma_f64 v[0:1], v[243:244], s[24:25], -v[32:33]
	v_add_f64_e64 v[2:3], v[196:197], -v[224:225]
	v_fma_f64 v[32:33], v[243:244], s[24:25], v[32:33]
	s_delay_alu instid0(VALU_DEP_3) | instskip(SKIP_1) | instid1(VALU_DEP_4)
	v_add_f64_e32 v[8:9], v[0:1], v[245:246]
	v_add_f64_e32 v[245:246], v[192:193], v[228:229]
	v_mul_f64_e32 v[237:238], s[20:21], v[2:3]
	s_delay_alu instid0(VALU_DEP_4) | instskip(NEXT) | instid1(VALU_DEP_3)
	v_add_f64_e32 v[32:33], v[32:33], v[186:187]
	v_fma_f64 v[0:1], v[245:246], s[24:25], v[235:236]
	s_delay_alu instid0(VALU_DEP_1) | instskip(SKIP_1) | instid1(VALU_DEP_1)
	v_add_f64_e32 v[14:15], v[0:1], v[46:47]
	v_add_f64_e32 v[0:1], v[194:195], v[222:223]
	v_fma_f64 v[24:25], v[0:1], s[26:27], -v[237:238]
	s_delay_alu instid0(VALU_DEP_1) | instskip(SKIP_1) | instid1(VALU_DEP_1)
	v_add_f64_e32 v[26:27], v[24:25], v[8:9]
	v_add_f64_e64 v[8:9], v[194:195], -v[222:223]
	v_mul_f64_e32 v[36:37], s[20:21], v[8:9]
	s_delay_alu instid0(VALU_DEP_1) | instskip(SKIP_1) | instid1(VALU_DEP_2)
	v_fma_f64 v[24:25], v[239:240], s[26:27], v[36:37]
	v_fma_f64 v[36:37], v[239:240], s[26:27], -v[36:37]
	v_add_f64_e32 v[38:39], v[24:25], v[14:15]
	v_add_f64_e64 v[24:25], v[200:201], -v[220:221]
	s_delay_alu instid0(VALU_DEP_1) | instskip(NEXT) | instid1(VALU_DEP_1)
	v_mul_f64_e32 v[42:43], s[14:15], v[24:25]
	v_fma_f64 v[14:15], v[249:250], s[22:23], -v[42:43]
	v_fma_f64 v[42:43], v[249:250], s[22:23], v[42:43]
	s_delay_alu instid0(VALU_DEP_2) | instskip(SKIP_2) | instid1(VALU_DEP_2)
	v_add_f64_e32 v[40:41], v[14:15], v[26:27]
	v_add_f64_e64 v[26:27], v[198:199], -v[218:219]
	v_add_f64_e32 v[14:15], v[200:201], v[220:221]
	v_mul_f64_e32 v[44:45], s[14:15], v[26:27]
	s_delay_alu instid0(VALU_DEP_1) | instskip(NEXT) | instid1(VALU_DEP_1)
	v_fma_f64 v[46:47], v[14:15], s[22:23], v[44:45]
	v_add_f64_e32 v[180:181], v[46:47], v[38:39]
	v_add_f64_e64 v[46:47], v[204:205], -v[216:217]
	v_add_f64_e32 v[38:39], v[202:203], v[214:215]
	s_delay_alu instid0(VALU_DEP_2) | instskip(NEXT) | instid1(VALU_DEP_1)
	v_mul_f64_e32 v[128:129], s[10:11], v[46:47]
	v_fma_f64 v[48:49], v[38:39], s[16:17], -v[128:129]
	s_delay_alu instid0(VALU_DEP_1) | instskip(SKIP_2) | instid1(VALU_DEP_2)
	v_add_f64_e32 v[130:131], v[48:49], v[40:41]
	v_add_f64_e64 v[48:49], v[202:203], -v[214:215]
	v_add_f64_e32 v[40:41], v[204:205], v[216:217]
	v_mul_f64_e32 v[132:133], s[10:11], v[48:49]
	s_delay_alu instid0(VALU_DEP_1) | instskip(NEXT) | instid1(VALU_DEP_1)
	v_fma_f64 v[134:135], v[40:41], s[16:17], v[132:133]
	v_add_f64_e32 v[134:135], v[134:135], v[180:181]
	v_add_f64_e32 v[180:181], v[142:143], v[130:131]
	v_add_f64_e64 v[130:131], v[206:207], -v[210:211]
	v_add_f64_e32 v[142:143], v[208:209], v[212:213]
	s_delay_alu instid0(VALU_DEP_2) | instskip(NEXT) | instid1(VALU_DEP_1)
	v_mul_f64_e32 v[144:145], s[2:3], v[130:131]
	v_fma_f64 v[146:147], v[142:143], s[12:13], v[144:145]
	s_delay_alu instid0(VALU_DEP_1)
	v_add_f64_e32 v[182:183], v[146:147], v[134:135]
	v_fma_f64 v[134:135], v[245:246], s[24:25], -v[235:236]
	v_fma_f64 v[146:147], v[0:1], s[26:27], v[237:238]
	s_wait_alu 0xfffe
	v_mul_f64_e32 v[235:236], s[36:37], v[130:131]
	v_mul_f64_e32 v[237:238], s[42:43], v[130:131]
	s_delay_alu instid0(VALU_DEP_4) | instskip(NEXT) | instid1(VALU_DEP_4)
	v_add_f64_e32 v[134:135], v[134:135], v[184:185]
	v_add_f64_e32 v[32:33], v[146:147], v[32:33]
	v_mul_f64_e32 v[146:147], s[36:37], v[136:137]
	s_delay_alu instid0(VALU_DEP_3) | instskip(NEXT) | instid1(VALU_DEP_3)
	v_add_f64_e32 v[36:37], v[36:37], v[134:135]
	v_add_f64_e32 v[32:33], v[42:43], v[32:33]
	v_fma_f64 v[42:43], v[14:15], s[22:23], -v[44:45]
	v_fma_f64 v[44:45], v[142:143], s[12:13], -v[144:145]
	s_delay_alu instid0(VALU_DEP_2) | instskip(SKIP_1) | instid1(VALU_DEP_1)
	v_add_f64_e32 v[36:37], v[42:43], v[36:37]
	v_fma_f64 v[42:43], v[38:39], s[16:17], v[128:129]
	v_add_f64_e32 v[32:33], v[42:43], v[32:33]
	v_fma_f64 v[42:43], v[40:41], s[16:17], -v[132:133]
	s_delay_alu instid0(VALU_DEP_1) | instskip(SKIP_1) | instid1(VALU_DEP_2)
	v_add_f64_e32 v[36:37], v[42:43], v[36:37]
	v_fma_f64 v[42:43], v[138:139], s[12:13], v[140:141]
	v_add_f64_e32 v[186:187], v[44:45], v[36:37]
	s_delay_alu instid0(VALU_DEP_2) | instskip(SKIP_1) | instid1(VALU_DEP_1)
	v_add_f64_e32 v[184:185], v[42:43], v[32:33]
	v_mul_f64_e32 v[32:33], s[14:15], v[251:252]
	v_fma_f64 v[36:37], v[243:244], s[22:23], -v[32:33]
	v_fma_f64 v[32:33], v[243:244], s[22:23], v[32:33]
	s_delay_alu instid0(VALU_DEP_2) | instskip(SKIP_1) | instid1(VALU_DEP_3)
	v_add_f64_e32 v[30:31], v[36:37], v[30:31]
	v_mul_f64_e32 v[36:37], s[14:15], v[253:254]
	v_add_f64_e32 v[22:23], v[32:33], v[22:23]
	s_delay_alu instid0(VALU_DEP_2) | instskip(SKIP_2) | instid1(VALU_DEP_3)
	v_fma_f64 v[42:43], v[245:246], s[22:23], v[36:37]
	v_fma_f64 v[32:33], v[245:246], s[22:23], -v[36:37]
	v_fma_f64 v[36:37], v[142:143], s[28:29], -v[235:236]
	v_add_f64_e32 v[28:29], v[42:43], v[28:29]
	v_mul_f64_e32 v[42:43], s[2:3], v[2:3]
	s_delay_alu instid0(VALU_DEP_4) | instskip(NEXT) | instid1(VALU_DEP_2)
	v_add_f64_e32 v[20:21], v[32:33], v[20:21]
	v_fma_f64 v[44:45], v[0:1], s[12:13], -v[42:43]
	v_fma_f64 v[32:33], v[0:1], s[12:13], v[42:43]
	s_delay_alu instid0(VALU_DEP_2) | instskip(SKIP_1) | instid1(VALU_DEP_3)
	v_add_f64_e32 v[30:31], v[44:45], v[30:31]
	v_mul_f64_e32 v[44:45], s[2:3], v[8:9]
	v_add_f64_e32 v[22:23], v[32:33], v[22:23]
	s_delay_alu instid0(VALU_DEP_2) | instskip(SKIP_1) | instid1(VALU_DEP_2)
	v_fma_f64 v[128:129], v[239:240], s[12:13], v[44:45]
	v_fma_f64 v[32:33], v[239:240], s[12:13], -v[44:45]
	v_add_f64_e32 v[28:29], v[128:129], v[28:29]
	v_mul_f64_e32 v[128:129], s[38:39], v[24:25]
	s_delay_alu instid0(VALU_DEP_3) | instskip(NEXT) | instid1(VALU_DEP_2)
	v_add_f64_e32 v[20:21], v[32:33], v[20:21]
	v_fma_f64 v[132:133], v[249:250], s[16:17], -v[128:129]
	v_fma_f64 v[32:33], v[249:250], s[16:17], v[128:129]
	s_delay_alu instid0(VALU_DEP_2) | instskip(SKIP_1) | instid1(VALU_DEP_3)
	v_add_f64_e32 v[30:31], v[132:133], v[30:31]
	v_mul_f64_e32 v[132:133], s[38:39], v[26:27]
	v_add_f64_e32 v[22:23], v[32:33], v[22:23]
	s_delay_alu instid0(VALU_DEP_2) | instskip(SKIP_1) | instid1(VALU_DEP_2)
	v_fma_f64 v[134:135], v[14:15], s[16:17], v[132:133]
	v_fma_f64 v[32:33], v[14:15], s[16:17], -v[132:133]
	v_add_f64_e32 v[28:29], v[134:135], v[28:29]
	v_mul_f64_e32 v[134:135], s[34:35], v[46:47]
	s_delay_alu instid0(VALU_DEP_3) | instskip(NEXT) | instid1(VALU_DEP_2)
	v_add_f64_e32 v[20:21], v[32:33], v[20:21]
	v_fma_f64 v[140:141], v[38:39], s[26:27], -v[134:135]
	v_fma_f64 v[32:33], v[38:39], s[26:27], v[134:135]
	s_delay_alu instid0(VALU_DEP_2) | instskip(SKIP_1) | instid1(VALU_DEP_3)
	v_add_f64_e32 v[30:31], v[140:141], v[30:31]
	v_mul_f64_e32 v[140:141], s[34:35], v[48:49]
	v_add_f64_e32 v[22:23], v[32:33], v[22:23]
	s_delay_alu instid0(VALU_DEP_2) | instskip(SKIP_1) | instid1(VALU_DEP_2)
	v_fma_f64 v[32:33], v[40:41], s[26:27], -v[140:141]
	v_fma_f64 v[144:145], v[40:41], s[26:27], v[140:141]
	v_add_f64_e32 v[32:33], v[32:33], v[20:21]
	v_fma_f64 v[20:21], v[138:139], s[28:29], v[146:147]
	s_delay_alu instid0(VALU_DEP_3) | instskip(SKIP_2) | instid1(VALU_DEP_4)
	v_add_f64_e32 v[144:145], v[144:145], v[28:29]
	v_fma_f64 v[28:29], v[138:139], s[28:29], -v[146:147]
	v_mul_f64_e32 v[146:147], s[10:11], v[136:137]
	v_add_f64_e32 v[20:21], v[20:21], v[22:23]
	v_add_f64_e32 v[22:23], v[36:37], v[32:33]
	v_mul_f64_e32 v[32:33], s[2:3], v[251:252]
	v_add_f64_e32 v[28:29], v[28:29], v[30:31]
	v_fma_f64 v[30:31], v[142:143], s[28:29], v[235:236]
	v_mul_f64_e32 v[235:236], s[10:11], v[130:131]
	s_delay_alu instid0(VALU_DEP_4) | instskip(SKIP_1) | instid1(VALU_DEP_4)
	v_fma_f64 v[36:37], v[243:244], s[12:13], -v[32:33]
	v_fma_f64 v[32:33], v[243:244], s[12:13], v[32:33]
	v_add_f64_e32 v[30:31], v[30:31], v[144:145]
	s_delay_alu instid0(VALU_DEP_3) | instskip(SKIP_1) | instid1(VALU_DEP_4)
	v_add_f64_e32 v[18:19], v[36:37], v[18:19]
	v_mul_f64_e32 v[36:37], s[2:3], v[253:254]
	v_add_f64_e32 v[12:13], v[32:33], v[12:13]
	s_delay_alu instid0(VALU_DEP_2) | instskip(SKIP_1) | instid1(VALU_DEP_2)
	v_fma_f64 v[42:43], v[245:246], s[12:13], v[36:37]
	v_fma_f64 v[32:33], v[245:246], s[12:13], -v[36:37]
	v_add_f64_e32 v[16:17], v[42:43], v[16:17]
	v_mul_f64_e32 v[42:43], s[40:41], v[2:3]
	s_delay_alu instid0(VALU_DEP_3) | instskip(NEXT) | instid1(VALU_DEP_2)
	v_add_f64_e32 v[32:33], v[32:33], v[247:248]
	v_fma_f64 v[44:45], v[0:1], s[22:23], -v[42:43]
	v_fma_f64 v[36:37], v[0:1], s[22:23], v[42:43]
	s_delay_alu instid0(VALU_DEP_2) | instskip(SKIP_1) | instid1(VALU_DEP_3)
	v_add_f64_e32 v[18:19], v[44:45], v[18:19]
	v_mul_f64_e32 v[44:45], s[40:41], v[8:9]
	v_add_f64_e32 v[12:13], v[36:37], v[12:13]
	s_delay_alu instid0(VALU_DEP_2) | instskip(SKIP_2) | instid1(VALU_DEP_3)
	v_fma_f64 v[128:129], v[239:240], s[22:23], v[44:45]
	v_fma_f64 v[36:37], v[239:240], s[22:23], -v[44:45]
	v_fma_f64 v[44:45], v[142:143], s[16:17], -v[235:236]
	v_add_f64_e32 v[16:17], v[128:129], v[16:17]
	v_mul_f64_e32 v[128:129], s[36:37], v[24:25]
	s_delay_alu instid0(VALU_DEP_4) | instskip(NEXT) | instid1(VALU_DEP_2)
	v_add_f64_e32 v[32:33], v[36:37], v[32:33]
	v_fma_f64 v[132:133], v[249:250], s[28:29], -v[128:129]
	v_fma_f64 v[36:37], v[249:250], s[28:29], v[128:129]
	s_delay_alu instid0(VALU_DEP_2) | instskip(SKIP_1) | instid1(VALU_DEP_3)
	v_add_f64_e32 v[18:19], v[132:133], v[18:19]
	v_mul_f64_e32 v[132:133], s[36:37], v[26:27]
	v_add_f64_e32 v[12:13], v[36:37], v[12:13]
	s_delay_alu instid0(VALU_DEP_2) | instskip(SKIP_1) | instid1(VALU_DEP_2)
	v_fma_f64 v[134:135], v[14:15], s[28:29], v[132:133]
	v_fma_f64 v[36:37], v[14:15], s[28:29], -v[132:133]
	v_add_f64_e32 v[16:17], v[134:135], v[16:17]
	v_mul_f64_e32 v[134:135], s[18:19], v[46:47]
	s_delay_alu instid0(VALU_DEP_3) | instskip(NEXT) | instid1(VALU_DEP_2)
	v_add_f64_e32 v[32:33], v[36:37], v[32:33]
	v_fma_f64 v[140:141], v[38:39], s[24:25], -v[134:135]
	v_fma_f64 v[36:37], v[38:39], s[24:25], v[134:135]
	s_delay_alu instid0(VALU_DEP_2) | instskip(SKIP_1) | instid1(VALU_DEP_3)
	v_add_f64_e32 v[18:19], v[140:141], v[18:19]
	v_mul_f64_e32 v[140:141], s[18:19], v[48:49]
	v_add_f64_e32 v[12:13], v[36:37], v[12:13]
	s_delay_alu instid0(VALU_DEP_2) | instskip(SKIP_1) | instid1(VALU_DEP_2)
	v_fma_f64 v[36:37], v[40:41], s[24:25], -v[140:141]
	v_fma_f64 v[144:145], v[40:41], s[24:25], v[140:141]
	v_add_f64_e32 v[32:33], v[36:37], v[32:33]
	v_fma_f64 v[36:37], v[138:139], s[16:17], v[146:147]
	s_delay_alu instid0(VALU_DEP_3) | instskip(SKIP_1) | instid1(VALU_DEP_4)
	v_add_f64_e32 v[144:145], v[144:145], v[16:17]
	v_fma_f64 v[16:17], v[138:139], s[16:17], -v[146:147]
	v_add_f64_e32 v[44:45], v[44:45], v[32:33]
	s_delay_alu instid0(VALU_DEP_4) | instskip(SKIP_1) | instid1(VALU_DEP_4)
	v_add_f64_e32 v[42:43], v[36:37], v[12:13]
	v_mul_f64_e32 v[12:13], s[38:39], v[251:252]
	v_add_f64_e32 v[16:17], v[16:17], v[18:19]
	v_fma_f64 v[18:19], v[142:143], s[16:17], v[235:236]
	v_mul_f64_e32 v[235:236], s[42:43], v[136:137]
	s_delay_alu instid0(VALU_DEP_4) | instskip(SKIP_1) | instid1(VALU_DEP_4)
	v_fma_f64 v[32:33], v[243:244], s[16:17], -v[12:13]
	v_fma_f64 v[12:13], v[243:244], s[16:17], v[12:13]
	v_add_f64_e32 v[18:19], v[18:19], v[144:145]
	s_delay_alu instid0(VALU_DEP_3) | instskip(SKIP_1) | instid1(VALU_DEP_4)
	v_add_f64_e32 v[6:7], v[32:33], v[6:7]
	v_mul_f64_e32 v[32:33], s[38:39], v[253:254]
	v_add_f64_e32 v[10:11], v[12:13], v[10:11]
	s_delay_alu instid0(VALU_DEP_2) | instskip(SKIP_1) | instid1(VALU_DEP_2)
	v_fma_f64 v[36:37], v[245:246], s[16:17], v[32:33]
	v_fma_f64 v[12:13], v[245:246], s[16:17], -v[32:33]
	v_add_f64_e32 v[4:5], v[36:37], v[4:5]
	v_mul_f64_e32 v[36:37], s[36:37], v[2:3]
	s_delay_alu instid0(VALU_DEP_3) | instskip(SKIP_1) | instid1(VALU_DEP_3)
	v_add_f64_e32 v[12:13], v[12:13], v[34:35]
	v_fma_f64 v[34:35], v[142:143], s[24:25], -v[237:238]
	v_fma_f64 v[128:129], v[0:1], s[28:29], -v[36:37]
	v_fma_f64 v[32:33], v[0:1], s[28:29], v[36:37]
	v_mul_f64_e32 v[36:37], s[34:35], v[251:252]
	s_delay_alu instid0(VALU_DEP_3) | instskip(SKIP_1) | instid1(VALU_DEP_4)
	v_add_f64_e32 v[6:7], v[128:129], v[6:7]
	v_mul_f64_e32 v[128:129], s[36:37], v[8:9]
	v_add_f64_e32 v[10:11], v[32:33], v[10:11]
	s_delay_alu instid0(VALU_DEP_2) | instskip(SKIP_2) | instid1(VALU_DEP_3)
	v_fma_f64 v[132:133], v[239:240], s[28:29], v[128:129]
	v_fma_f64 v[32:33], v[239:240], s[28:29], -v[128:129]
	v_mul_f64_e32 v[128:129], s[34:35], v[253:254]
	v_add_f64_e32 v[4:5], v[132:133], v[4:5]
	v_mul_f64_e32 v[132:133], s[20:21], v[24:25]
	s_delay_alu instid0(VALU_DEP_4) | instskip(NEXT) | instid1(VALU_DEP_2)
	v_add_f64_e32 v[12:13], v[32:33], v[12:13]
	v_fma_f64 v[134:135], v[249:250], s[26:27], -v[132:133]
	v_fma_f64 v[32:33], v[249:250], s[26:27], v[132:133]
	v_mul_f64_e32 v[132:133], s[18:19], v[2:3]
	v_mul_f64_e32 v[2:3], s[10:11], v[2:3]
	s_delay_alu instid0(VALU_DEP_4) | instskip(SKIP_2) | instid1(VALU_DEP_2)
	v_add_f64_e32 v[6:7], v[134:135], v[6:7]
	v_mul_f64_e32 v[134:135], s[20:21], v[26:27]
	v_add_f64_e32 v[10:11], v[32:33], v[10:11]
	v_fma_f64 v[140:141], v[14:15], s[26:27], v[134:135]
	v_fma_f64 v[32:33], v[14:15], s[26:27], -v[134:135]
	v_fma_f64 v[134:135], v[0:1], s[24:25], -v[132:133]
	s_delay_alu instid0(VALU_DEP_3) | instskip(SKIP_1) | instid1(VALU_DEP_4)
	v_add_f64_e32 v[4:5], v[140:141], v[4:5]
	v_mul_f64_e32 v[140:141], s[44:45], v[46:47]
	v_add_f64_e32 v[12:13], v[32:33], v[12:13]
	s_delay_alu instid0(VALU_DEP_2) | instskip(SKIP_1) | instid1(VALU_DEP_2)
	v_fma_f64 v[144:145], v[38:39], s[12:13], -v[140:141]
	v_fma_f64 v[32:33], v[38:39], s[12:13], v[140:141]
	v_add_f64_e32 v[6:7], v[144:145], v[6:7]
	v_mul_f64_e32 v[144:145], s[44:45], v[48:49]
	s_delay_alu instid0(VALU_DEP_3) | instskip(NEXT) | instid1(VALU_DEP_2)
	v_add_f64_e32 v[10:11], v[32:33], v[10:11]
	v_fma_f64 v[32:33], v[40:41], s[12:13], -v[144:145]
	v_fma_f64 v[146:147], v[40:41], s[12:13], v[144:145]
	s_delay_alu instid0(VALU_DEP_2) | instskip(SKIP_1) | instid1(VALU_DEP_3)
	v_add_f64_e32 v[12:13], v[32:33], v[12:13]
	v_fma_f64 v[32:33], v[138:139], s[24:25], v[235:236]
	v_add_f64_e32 v[146:147], v[146:147], v[4:5]
	v_fma_f64 v[4:5], v[138:139], s[24:25], -v[235:236]
	s_delay_alu instid0(VALU_DEP_4)
	v_add_f64_e32 v[12:13], v[34:35], v[12:13]
	scratch_load_b64 v[34:35], off, off offset:364 th:TH_LOAD_LU ; 8-byte Folded Reload
	v_add_f64_e32 v[10:11], v[32:33], v[10:11]
	v_fma_f64 v[32:33], v[243:244], s[26:27], -v[36:37]
	v_add_f64_e32 v[4:5], v[4:5], v[6:7]
	v_fma_f64 v[6:7], v[142:143], s[24:25], v[237:238]
	v_fma_f64 v[36:37], v[243:244], s[26:27], v[36:37]
	s_delay_alu instid0(VALU_DEP_2) | instskip(SKIP_3) | instid1(VALU_DEP_2)
	v_add_f64_e32 v[6:7], v[6:7], v[146:147]
	s_wait_loadcnt 0x0
	v_add_f64_e32 v[32:33], v[32:33], v[34:35]
	v_fma_f64 v[34:35], v[245:246], s[26:27], v[128:129]
	v_add_f64_e32 v[32:33], v[134:135], v[32:33]
	v_mul_f64_e32 v[134:135], s[18:19], v[8:9]
	s_delay_alu instid0(VALU_DEP_3) | instskip(SKIP_1) | instid1(VALU_DEP_3)
	v_add_f64_e32 v[34:35], v[34:35], v[52:53]
	v_mul_f64_e32 v[8:9], s[10:11], v[8:9]
	v_fma_f64 v[140:141], v[239:240], s[24:25], v[134:135]
	s_delay_alu instid0(VALU_DEP_1) | instskip(SKIP_1) | instid1(VALU_DEP_1)
	v_add_f64_e32 v[34:35], v[140:141], v[34:35]
	v_mul_f64_e32 v[140:141], s[44:45], v[24:25]
	v_fma_f64 v[144:145], v[249:250], s[12:13], -v[140:141]
	s_delay_alu instid0(VALU_DEP_1) | instskip(SKIP_1) | instid1(VALU_DEP_1)
	v_add_f64_e32 v[32:33], v[144:145], v[32:33]
	v_mul_f64_e32 v[144:145], s[44:45], v[26:27]
	v_fma_f64 v[146:147], v[14:15], s[12:13], v[144:145]
	s_delay_alu instid0(VALU_DEP_1) | instskip(SKIP_2) | instid1(VALU_DEP_2)
	v_add_f64_e32 v[34:35], v[146:147], v[34:35]
	v_mul_f64_e32 v[146:147], s[36:37], v[46:47]
	v_mul_f64_e32 v[46:47], s[14:15], v[46:47]
	v_fma_f64 v[235:236], v[38:39], s[28:29], -v[146:147]
	s_delay_alu instid0(VALU_DEP_1) | instskip(SKIP_2) | instid1(VALU_DEP_2)
	v_add_f64_e32 v[32:33], v[235:236], v[32:33]
	v_mul_f64_e32 v[235:236], s[36:37], v[48:49]
	v_mul_f64_e32 v[48:49], s[14:15], v[48:49]
	v_fma_f64 v[237:238], v[40:41], s[28:29], v[235:236]
	s_delay_alu instid0(VALU_DEP_1) | instskip(SKIP_1) | instid1(VALU_DEP_1)
	v_add_f64_e32 v[34:35], v[237:238], v[34:35]
	v_mul_f64_e32 v[237:238], s[14:15], v[136:137]
	v_fma_f64 v[247:248], v[138:139], s[22:23], -v[237:238]
	s_delay_alu instid0(VALU_DEP_1) | instskip(SKIP_2) | instid1(VALU_DEP_2)
	v_add_f64_e32 v[32:33], v[247:248], v[32:33]
	v_mul_f64_e32 v[247:248], s[14:15], v[130:131]
	v_mul_f64_e32 v[130:131], s[34:35], v[130:131]
	v_fma_f64 v[52:53], v[142:143], s[22:23], v[247:248]
	s_delay_alu instid0(VALU_DEP_1)
	v_add_f64_e32 v[34:35], v[52:53], v[34:35]
	scratch_load_b64 v[52:53], off, off offset:356 th:TH_LOAD_LU ; 8-byte Folded Reload
	s_wait_loadcnt 0x0
	v_add_f64_e32 v[36:37], v[36:37], v[52:53]
	v_fma_f64 v[52:53], v[245:246], s[26:27], -v[128:129]
	v_fma_f64 v[128:129], v[142:143], s[22:23], -v[247:248]
	s_delay_alu instid0(VALU_DEP_2) | instskip(SKIP_4) | instid1(VALU_DEP_1)
	v_add_f64_e32 v[52:53], v[52:53], v[54:55]
	v_fma_f64 v[54:55], v[0:1], s[24:25], v[132:133]
	scratch_load_b64 v[132:133], off, off offset:340 th:TH_LOAD_LU ; 8-byte Folded Reload
	v_add_f64_e32 v[36:37], v[54:55], v[36:37]
	v_fma_f64 v[54:55], v[239:240], s[24:25], -v[134:135]
	v_add_f64_e32 v[52:53], v[54:55], v[52:53]
	v_fma_f64 v[54:55], v[249:250], s[12:13], v[140:141]
	s_delay_alu instid0(VALU_DEP_1) | instskip(SKIP_1) | instid1(VALU_DEP_1)
	v_add_f64_e32 v[36:37], v[54:55], v[36:37]
	v_fma_f64 v[54:55], v[14:15], s[12:13], -v[144:145]
	v_add_f64_e32 v[52:53], v[54:55], v[52:53]
	v_fma_f64 v[54:55], v[38:39], s[28:29], v[146:147]
	s_delay_alu instid0(VALU_DEP_1) | instskip(SKIP_1) | instid1(VALU_DEP_1)
	v_add_f64_e32 v[36:37], v[54:55], v[36:37]
	v_fma_f64 v[54:55], v[40:41], s[28:29], -v[235:236]
	v_add_f64_e32 v[52:53], v[54:55], v[52:53]
	v_fma_f64 v[54:55], v[138:139], s[22:23], v[237:238]
	s_delay_alu instid0(VALU_DEP_2) | instskip(NEXT) | instid1(VALU_DEP_2)
	v_add_f64_e32 v[237:238], v[128:129], v[52:53]
	v_add_f64_e32 v[235:236], v[54:55], v[36:37]
	scratch_load_b64 v[54:55], off, off offset:348 th:TH_LOAD_LU ; 8-byte Folded Reload
	v_mul_f64_e32 v[36:37], s[36:37], v[251:252]
	s_delay_alu instid0(VALU_DEP_1) | instskip(SKIP_2) | instid1(VALU_DEP_2)
	v_fma_f64 v[52:53], v[243:244], s[28:29], -v[36:37]
	v_fma_f64 v[36:37], v[243:244], s[28:29], v[36:37]
	s_wait_loadcnt 0x0
	v_add_f64_e32 v[52:53], v[52:53], v[54:55]
	v_mul_f64_e32 v[54:55], s[36:37], v[253:254]
	s_delay_alu instid0(VALU_DEP_1) | instskip(SKIP_1) | instid1(VALU_DEP_2)
	v_fma_f64 v[128:129], v[245:246], s[28:29], v[54:55]
	v_fma_f64 v[54:55], v[245:246], s[28:29], -v[54:55]
	v_add_f64_e32 v[128:129], v[128:129], v[132:133]
	v_fma_f64 v[132:133], v[0:1], s[16:17], -v[2:3]
	v_fma_f64 v[0:1], v[0:1], s[16:17], v[2:3]
	v_fma_f64 v[2:3], v[239:240], s[16:17], -v[8:9]
	s_delay_alu instid0(VALU_DEP_3) | instskip(SKIP_4) | instid1(VALU_DEP_1)
	v_add_f64_e32 v[52:53], v[132:133], v[52:53]
	v_fma_f64 v[132:133], v[239:240], s[16:17], v[8:9]
	scratch_load_b64 v[8:9], off, off offset:324 th:TH_LOAD_LU ; 8-byte Folded Reload
	v_add_f64_e32 v[128:129], v[132:133], v[128:129]
	v_mul_f64_e32 v[132:133], s[42:43], v[24:25]
	v_fma_f64 v[24:25], v[249:250], s[24:25], -v[132:133]
	s_delay_alu instid0(VALU_DEP_1) | instskip(SKIP_1) | instid1(VALU_DEP_1)
	v_add_f64_e32 v[24:25], v[24:25], v[52:53]
	v_mul_f64_e32 v[52:53], s[42:43], v[26:27]
	v_fma_f64 v[26:27], v[14:15], s[24:25], v[52:53]
	v_fma_f64 v[14:15], v[14:15], s[24:25], -v[52:53]
	s_delay_alu instid0(VALU_DEP_2) | instskip(SKIP_1) | instid1(VALU_DEP_1)
	v_add_f64_e32 v[26:27], v[26:27], v[128:129]
	v_fma_f64 v[128:129], v[38:39], s[22:23], -v[46:47]
	v_add_f64_e32 v[24:25], v[128:129], v[24:25]
	v_fma_f64 v[128:129], v[40:41], s[22:23], v[48:49]
	s_delay_alu instid0(VALU_DEP_1) | instskip(SKIP_1) | instid1(VALU_DEP_1)
	v_add_f64_e32 v[26:27], v[128:129], v[26:27]
	v_mul_f64_e32 v[128:129], s[34:35], v[136:137]
	v_fma_f64 v[134:135], v[138:139], s[26:27], -v[128:129]
	s_wait_loadcnt 0x0
	v_add_f64_e32 v[8:9], v[36:37], v[8:9]
	scratch_load_b64 v[36:37], off, off offset:332 th:TH_LOAD_LU ; 8-byte Folded Reload
	v_add_f64_e32 v[24:25], v[134:135], v[24:25]
	v_fma_f64 v[134:135], v[142:143], s[26:27], v[130:131]
	v_add_f64_e32 v[0:1], v[0:1], v[8:9]
	v_fma_f64 v[8:9], v[38:39], s[22:23], v[46:47]
	v_fma_f64 v[38:39], v[142:143], s[26:27], -v[130:131]
	s_delay_alu instid0(VALU_DEP_4) | instskip(SKIP_3) | instid1(VALU_DEP_2)
	v_add_f64_e32 v[26:27], v[134:135], v[26:27]
	s_wait_loadcnt 0x0
	v_add_f64_e32 v[36:37], v[54:55], v[36:37]
	v_fma_f64 v[54:55], v[249:250], s[24:25], v[132:133]
	v_add_f64_e32 v[2:3], v[2:3], v[36:37]
	s_delay_alu instid0(VALU_DEP_2) | instskip(SKIP_1) | instid1(VALU_DEP_3)
	v_add_f64_e32 v[0:1], v[54:55], v[0:1]
	v_fma_f64 v[36:37], v[40:41], s[22:23], -v[48:49]
	v_add_f64_e32 v[2:3], v[14:15], v[2:3]
	v_fma_f64 v[14:15], v[138:139], s[26:27], v[128:129]
	s_delay_alu instid0(VALU_DEP_4)
	v_add_f64_e32 v[0:1], v[8:9], v[0:1]
	scratch_load_b64 v[8:9], off, off offset:308 th:TH_LOAD_LU ; 8-byte Folded Reload
	v_add_f64_e32 v[2:3], v[36:37], v[2:3]
	v_add_f64_e32 v[0:1], v[14:15], v[0:1]
	scratch_load_b64 v[14:15], off, off offset:316 th:TH_LOAD_LU ; 8-byte Folded Reload
	v_add_f64_e32 v[2:3], v[38:39], v[2:3]
	s_wait_loadcnt 0x1
	v_add_f64_e32 v[8:9], v[8:9], v[190:191]
	s_wait_loadcnt 0x0
	v_add_f64_e32 v[14:15], v[14:15], v[192:193]
	s_delay_alu instid0(VALU_DEP_2) | instskip(NEXT) | instid1(VALU_DEP_2)
	v_add_f64_e32 v[8:9], v[8:9], v[194:195]
	v_add_f64_e32 v[14:15], v[14:15], v[196:197]
	s_delay_alu instid0(VALU_DEP_2) | instskip(NEXT) | instid1(VALU_DEP_2)
	v_add_f64_e32 v[8:9], v[8:9], v[198:199]
	;; [unrolled: 3-line block ×10, first 2 shown]
	v_add_f64_e32 v[38:39], v[14:15], v[230:231]
	ds_store_b128 v51, v[28:31] offset:2496
	ds_store_b128 v51, v[16:19] offset:3744
	;; [unrolled: 1-line block ×12, first 2 shown]
	ds_store_b128 v51, v[36:39]
	global_wb scope:SCOPE_SE
	s_wait_storecnt_dscnt 0x0
	s_barrier_signal -1
	s_barrier_wait -1
	global_inv scope:SCOPE_SE
	global_load_b128 v[0:3], v[188:189], off offset:16224
	ds_load_b128 v[4:7], v51
	ds_load_b128 v[8:11], v51 offset:1248
	s_wait_loadcnt_dscnt 0x1
	v_mul_f64_e32 v[12:13], v[6:7], v[2:3]
	v_mul_f64_e32 v[2:3], v[4:5], v[2:3]
	s_delay_alu instid0(VALU_DEP_2) | instskip(NEXT) | instid1(VALU_DEP_2)
	v_fma_f64 v[180:181], v[4:5], v[0:1], -v[12:13]
	v_fma_f64 v[182:183], v[6:7], v[0:1], v[2:3]
	s_clause 0x1
	global_load_b128 v[0:3], v255, s[8:9] offset:1248
	global_load_b128 v[4:7], v255, s[8:9] offset:2496
	s_wait_loadcnt_dscnt 0x100
	v_mul_f64_e32 v[12:13], v[10:11], v[2:3]
	v_mul_f64_e32 v[2:3], v[8:9], v[2:3]
	s_delay_alu instid0(VALU_DEP_2) | instskip(NEXT) | instid1(VALU_DEP_2)
	v_fma_f64 v[184:185], v[8:9], v[0:1], -v[12:13]
	v_fma_f64 v[186:187], v[10:11], v[0:1], v[2:3]
	ds_load_b128 v[0:3], v51 offset:2496
	ds_load_b128 v[8:11], v51 offset:3744
	s_wait_loadcnt_dscnt 0x1
	v_mul_f64_e32 v[12:13], v[2:3], v[6:7]
	v_mul_f64_e32 v[6:7], v[0:1], v[6:7]
	s_delay_alu instid0(VALU_DEP_2) | instskip(NEXT) | instid1(VALU_DEP_2)
	v_fma_f64 v[0:1], v[0:1], v[4:5], -v[12:13]
	v_fma_f64 v[2:3], v[2:3], v[4:5], v[6:7]
	s_clause 0x1
	global_load_b128 v[4:7], v255, s[8:9] offset:3744
	global_load_b128 v[12:15], v255, s[8:9] offset:4992
	s_wait_loadcnt_dscnt 0x100
	v_mul_f64_e32 v[16:17], v[10:11], v[6:7]
	v_mul_f64_e32 v[18:19], v[8:9], v[6:7]
	s_delay_alu instid0(VALU_DEP_2) | instskip(NEXT) | instid1(VALU_DEP_2)
	v_fma_f64 v[6:7], v[8:9], v[4:5], -v[16:17]
	v_fma_f64 v[8:9], v[10:11], v[4:5], v[18:19]
	ds_load_b128 v[16:19], v51 offset:4992
	;; [unrolled: 17-line block ×3, first 2 shown]
	ds_load_b128 v[28:31], v51 offset:8736
	s_wait_loadcnt_dscnt 0x1
	v_mul_f64_e32 v[4:5], v[22:23], v[26:27]
	v_mul_f64_e32 v[14:15], v[20:21], v[26:27]
	s_delay_alu instid0(VALU_DEP_2) | instskip(NEXT) | instid1(VALU_DEP_2)
	v_fma_f64 v[20:21], v[20:21], v[24:25], -v[4:5]
	v_fma_f64 v[22:23], v[22:23], v[24:25], v[14:15]
	s_clause 0x1
	global_load_b128 v[24:27], v255, s[8:9] offset:8736
	global_load_b128 v[32:35], v255, s[8:9] offset:9984
	ds_load_b128 v[36:39], v51 offset:9984
	ds_load_b128 v[40:43], v51 offset:11232
	s_wait_loadcnt_dscnt 0x102
	v_mul_f64_e32 v[4:5], v[30:31], v[26:27]
	v_mul_f64_e32 v[14:15], v[28:29], v[26:27]
	s_delay_alu instid0(VALU_DEP_2) | instskip(SKIP_2) | instid1(VALU_DEP_3)
	v_fma_f64 v[26:27], v[28:29], v[24:25], -v[4:5]
	s_wait_loadcnt_dscnt 0x1
	v_mul_f64_e32 v[4:5], v[38:39], v[34:35]
	v_fma_f64 v[28:29], v[30:31], v[24:25], v[14:15]
	v_mul_f64_e32 v[14:15], v[36:37], v[34:35]
	s_delay_alu instid0(VALU_DEP_3)
	v_fma_f64 v[30:31], v[36:37], v[32:33], -v[4:5]
	s_clause 0x1
	global_load_b128 v[34:37], v255, s[8:9] offset:11232
	global_load_b128 v[44:47], v255, s[8:9] offset:12480
	v_fma_f64 v[32:33], v[38:39], v[32:33], v[14:15]
	s_wait_loadcnt_dscnt 0x100
	v_mul_f64_e32 v[4:5], v[42:43], v[36:37]
	v_mul_f64_e32 v[14:15], v[40:41], v[36:37]
	s_delay_alu instid0(VALU_DEP_2) | instskip(NEXT) | instid1(VALU_DEP_2)
	v_fma_f64 v[36:37], v[40:41], v[34:35], -v[4:5]
	v_fma_f64 v[38:39], v[42:43], v[34:35], v[14:15]
	ds_load_b128 v[40:43], v51 offset:12480
	ds_load_b128 v[188:191], v51 offset:13728
	s_wait_loadcnt_dscnt 0x1
	v_mul_f64_e32 v[4:5], v[42:43], v[46:47]
	v_mul_f64_e32 v[14:15], v[40:41], v[46:47]
	s_delay_alu instid0(VALU_DEP_2) | instskip(NEXT) | instid1(VALU_DEP_2)
	v_fma_f64 v[40:41], v[40:41], v[44:45], -v[4:5]
	v_fma_f64 v[42:43], v[42:43], v[44:45], v[14:15]
	s_clause 0x1
	global_load_b128 v[44:47], v255, s[8:9] offset:13728
	global_load_b128 v[192:195], v255, s[8:9] offset:14976
	s_wait_loadcnt_dscnt 0x100
	v_mul_f64_e32 v[4:5], v[190:191], v[46:47]
	v_mul_f64_e32 v[14:15], v[188:189], v[46:47]
	s_delay_alu instid0(VALU_DEP_2) | instskip(NEXT) | instid1(VALU_DEP_2)
	v_fma_f64 v[46:47], v[188:189], v[44:45], -v[4:5]
	v_fma_f64 v[48:49], v[190:191], v[44:45], v[14:15]
	ds_load_b128 v[188:191], v51 offset:14976
	s_wait_loadcnt_dscnt 0x0
	v_mul_f64_e32 v[4:5], v[190:191], v[194:195]
	v_mul_f64_e32 v[14:15], v[188:189], v[194:195]
	s_delay_alu instid0(VALU_DEP_2) | instskip(NEXT) | instid1(VALU_DEP_2)
	v_fma_f64 v[188:189], v[188:189], v[192:193], -v[4:5]
	v_fma_f64 v[190:191], v[190:191], v[192:193], v[14:15]
	ds_store_b128 v51, v[180:183]
	ds_store_b128 v51, v[184:187] offset:1248
	ds_store_b128 v51, v[0:3] offset:2496
	;; [unrolled: 1-line block ×12, first 2 shown]
	global_wb scope:SCOPE_SE
	s_wait_dscnt 0x0
	s_barrier_signal -1
	s_barrier_wait -1
	global_inv scope:SCOPE_SE
	ds_load_b128 v[180:183], v51
	ds_load_b128 v[184:187], v51 offset:1248
	ds_load_b128 v[188:191], v51 offset:2496
	;; [unrolled: 1-line block ×9, first 2 shown]
	s_wait_dscnt 0x8
	v_add_f64_e32 v[0:1], v[180:181], v[184:185]
	v_add_f64_e32 v[2:3], v[182:183], v[186:187]
	s_wait_dscnt 0x2
	v_add_f64_e32 v[212:213], v[206:207], v[210:211]
	s_wait_dscnt 0x1
	v_add_f64_e32 v[36:37], v[202:203], v[10:11]
	v_add_f64_e64 v[38:39], v[202:203], -v[10:11]
	v_add_f64_e32 v[0:1], v[0:1], v[188:189]
	v_add_f64_e32 v[2:3], v[2:3], v[190:191]
	s_delay_alu instid0(VALU_DEP_4) | instskip(NEXT) | instid1(VALU_DEP_4)
	v_mul_f64_e32 v[237:238], s[26:27], v[36:37]
	v_mul_f64_e32 v[235:236], s[34:35], v[38:39]
	s_delay_alu instid0(VALU_DEP_4) | instskip(NEXT) | instid1(VALU_DEP_4)
	v_add_f64_e32 v[0:1], v[0:1], v[192:193]
	v_add_f64_e32 v[2:3], v[2:3], v[194:195]
	s_delay_alu instid0(VALU_DEP_2) | instskip(NEXT) | instid1(VALU_DEP_2)
	v_add_f64_e32 v[0:1], v[0:1], v[196:197]
	v_add_f64_e32 v[2:3], v[2:3], v[198:199]
	s_delay_alu instid0(VALU_DEP_2) | instskip(NEXT) | instid1(VALU_DEP_2)
	;; [unrolled: 3-line block ×3, first 2 shown]
	v_add_f64_e32 v[4:5], v[0:1], v[204:205]
	v_add_f64_e32 v[6:7], v[2:3], v[206:207]
	;; [unrolled: 1-line block ×3, first 2 shown]
	v_add_f64_e64 v[2:3], v[204:205], -v[208:209]
	v_add_f64_e64 v[204:205], v[206:207], -v[210:211]
	v_add_f64_e32 v[16:17], v[4:5], v[208:209]
	v_add_f64_e32 v[18:19], v[6:7], v[210:211]
	;; [unrolled: 1-line block ×3, first 2 shown]
	v_add_f64_e64 v[6:7], v[200:201], -v[8:9]
	s_wait_dscnt 0x0
	v_add_f64_e32 v[200:201], v[198:199], v[14:15]
	v_mul_f64_e32 v[239:240], s[36:37], v[204:205]
	v_add_f64_e32 v[16:17], v[16:17], v[8:9]
	v_add_f64_e32 v[18:19], v[18:19], v[10:11]
	;; [unrolled: 1-line block ×3, first 2 shown]
	v_add_f64_e64 v[10:11], v[196:197], -v[12:13]
	v_add_f64_e64 v[196:197], v[198:199], -v[14:15]
	v_mul_f64_e32 v[233:234], s[16:17], v[200:201]
	v_add_f64_e32 v[24:25], v[16:17], v[12:13]
	v_add_f64_e32 v[26:27], v[18:19], v[14:15]
	ds_load_b128 v[16:19], v51 offset:12480
	ds_load_b128 v[20:23], v51 offset:13728
	v_mul_f64_e32 v[228:229], s[38:39], v[196:197]
	s_wait_dscnt 0x1
	v_add_f64_e32 v[12:13], v[192:193], v[16:17]
	v_add_f64_e32 v[198:199], v[194:195], v[18:19]
	v_add_f64_e64 v[14:15], v[192:193], -v[16:17]
	v_add_f64_e64 v[202:203], v[194:195], -v[18:19]
	s_wait_dscnt 0x0
	v_add_f64_e32 v[206:207], v[190:191], v[22:23]
	v_add_f64_e64 v[208:209], v[190:191], -v[22:23]
	v_add_f64_e32 v[24:25], v[24:25], v[16:17]
	v_add_f64_e32 v[26:27], v[26:27], v[18:19]
	;; [unrolled: 1-line block ×3, first 2 shown]
	v_add_f64_e64 v[18:19], v[188:189], -v[20:21]
	v_mul_f64_e32 v[224:225], s[12:13], v[198:199]
	v_mul_f64_e32 v[222:223], s[2:3], v[202:203]
	v_add_f64_e32 v[24:25], v[24:25], v[20:21]
	v_add_f64_e32 v[26:27], v[26:27], v[22:23]
	ds_load_b128 v[20:23], v51 offset:14976
	global_wb scope:SCOPE_SE
	s_wait_dscnt 0x0
	s_barrier_signal -1
	s_barrier_wait -1
	global_inv scope:SCOPE_SE
	v_add_f64_e64 v[28:29], v[186:187], -v[22:23]
	v_add_f64_e32 v[30:31], v[184:185], v[20:21]
	v_add_f64_e64 v[34:35], v[184:185], -v[20:21]
	v_add_f64_e32 v[32:33], v[186:187], v[22:23]
	v_add_f64_e32 v[184:185], v[24:25], v[20:21]
	;; [unrolled: 1-line block ×3, first 2 shown]
	v_mul_f64_e32 v[24:25], s[20:21], v[28:29]
	v_mul_f64_e32 v[20:21], s[30:31], v[28:29]
	;; [unrolled: 1-line block ×9, first 2 shown]
	v_fma_f64 v[48:49], v[30:31], s[26:27], v[24:25]
	v_fma_f64 v[24:25], v[30:31], s[26:27], -v[24:25]
	v_fma_f64 v[42:43], v[30:31], s[28:29], v[20:21]
	v_fma_f64 v[20:21], v[30:31], s[28:29], -v[20:21]
	v_fma_f64 v[44:45], v[30:31], s[24:25], v[22:23]
	v_fma_f64 v[46:47], v[30:31], s[24:25], -v[22:23]
	v_fma_f64 v[52:53], v[30:31], s[22:23], v[26:27]
	v_fma_f64 v[26:27], v[30:31], s[22:23], -v[26:27]
	v_fma_f64 v[54:55], v[30:31], s[16:17], v[40:41]
	v_fma_f64 v[40:41], v[30:31], s[16:17], -v[40:41]
	v_fma_f64 v[128:129], v[30:31], s[12:13], v[28:29]
	v_fma_f64 v[28:29], v[30:31], s[12:13], -v[28:29]
	v_mul_f64_e32 v[22:23], s[28:29], v[32:33]
	v_mul_f64_e32 v[30:31], s[24:25], v[32:33]
	;; [unrolled: 1-line block ×3, first 2 shown]
	v_fma_f64 v[140:141], v[34:35], s[34:35], v[130:131]
	v_fma_f64 v[130:131], v[34:35], s[20:21], v[130:131]
	;; [unrolled: 1-line block ×6, first 2 shown]
	v_add_f64_e32 v[48:49], v[180:181], v[48:49]
	v_add_f64_e32 v[226:227], v[180:181], v[24:25]
	v_mul_f64_e32 v[24:25], s[18:19], v[208:209]
	v_add_f64_e32 v[20:21], v[180:181], v[20:21]
	v_add_f64_e32 v[210:211], v[180:181], v[44:45]
	v_add_f64_e32 v[218:219], v[180:181], v[46:47]
	v_add_f64_e32 v[52:53], v[180:181], v[52:53]
	v_add_f64_e32 v[230:231], v[180:181], v[26:27]
	v_add_f64_e32 v[54:55], v[180:181], v[54:55]
	v_add_f64_e32 v[46:47], v[180:181], v[40:41]
	v_add_f64_e32 v[194:195], v[180:181], v[28:29]
	v_fma_f64 v[136:137], v[34:35], s[36:37], v[22:23]
	v_fma_f64 v[22:23], v[34:35], s[30:31], v[22:23]
	v_fma_f64 v[138:139], v[34:35], s[42:43], v[30:31]
	v_fma_f64 v[30:31], v[34:35], s[18:19], v[30:31]
	v_fma_f64 v[146:147], v[34:35], s[44:45], v[32:33]
	v_fma_f64 v[32:33], v[34:35], s[2:3], v[32:33]
	v_add_f64_e32 v[34:35], v[180:181], v[42:43]
	v_add_f64_e32 v[42:43], v[180:181], v[128:129]
	v_add_f64_e32 v[44:45], v[182:183], v[134:135]
	v_mul_f64_e32 v[180:181], s[10:11], v[38:39]
	v_add_f64_e32 v[140:141], v[182:183], v[140:141]
	v_add_f64_e32 v[130:131], v[182:183], v[130:131]
	;; [unrolled: 1-line block ×5, first 2 shown]
	v_fma_f64 v[26:27], v[16:17], s[24:25], v[24:25]
	v_add_f64_e32 v[136:137], v[182:183], v[136:137]
	v_add_f64_e32 v[22:23], v[182:183], v[22:23]
	;; [unrolled: 1-line block ×6, first 2 shown]
	v_mul_f64_e32 v[182:183], s[16:17], v[36:37]
	v_add_f64_e32 v[30:31], v[26:27], v[34:35]
	v_mul_f64_e32 v[26:27], s[24:25], v[206:207]
	s_delay_alu instid0(VALU_DEP_1) | instskip(NEXT) | instid1(VALU_DEP_1)
	v_fma_f64 v[28:29], v[18:19], s[42:43], v[26:27]
	v_add_f64_e32 v[32:33], v[28:29], v[136:137]
	v_mul_f64_e32 v[28:29], s[20:21], v[202:203]
	s_delay_alu instid0(VALU_DEP_1) | instskip(NEXT) | instid1(VALU_DEP_1)
	v_fma_f64 v[34:35], v[12:13], s[26:27], v[28:29]
	;; [unrolled: 4-line block ×5, first 2 shown]
	v_add_f64_e32 v[128:129], v[136:137], v[128:129]
	v_fma_f64 v[136:137], v[4:5], s[16:17], v[180:181]
	s_delay_alu instid0(VALU_DEP_1) | instskip(SKIP_1) | instid1(VALU_DEP_1)
	v_add_f64_e32 v[134:135], v[136:137], v[134:135]
	v_fma_f64 v[136:137], v[6:7], s[38:39], v[182:183]
	v_add_f64_e32 v[128:129], v[136:137], v[128:129]
	v_mul_f64_e32 v[136:137], s[2:3], v[204:205]
	s_delay_alu instid0(VALU_DEP_1) | instskip(NEXT) | instid1(VALU_DEP_1)
	v_fma_f64 v[146:147], v[0:1], s[12:13], v[136:137]
	v_add_f64_e32 v[188:189], v[146:147], v[134:135]
	v_mul_f64_e32 v[134:135], s[12:13], v[212:213]
	s_delay_alu instid0(VALU_DEP_1) | instskip(NEXT) | instid1(VALU_DEP_1)
	v_fma_f64 v[146:147], v[2:3], s[44:45], v[134:135]
	v_add_f64_e32 v[190:191], v[146:147], v[128:129]
	v_mul_f64_e32 v[128:129], s[14:15], v[208:209]
	s_delay_alu instid0(VALU_DEP_1) | instskip(SKIP_1) | instid1(VALU_DEP_2)
	v_fma_f64 v[146:147], v[16:17], s[22:23], v[128:129]
	v_fma_f64 v[128:129], v[16:17], s[22:23], -v[128:129]
	v_add_f64_e32 v[146:147], v[146:147], v[210:211]
	v_mul_f64_e32 v[210:211], s[22:23], v[206:207]
	s_delay_alu instid0(VALU_DEP_3) | instskip(NEXT) | instid1(VALU_DEP_2)
	v_add_f64_e32 v[128:129], v[128:129], v[218:219]
	v_fma_f64 v[214:215], v[18:19], s[40:41], v[210:211]
	s_delay_alu instid0(VALU_DEP_1) | instskip(SKIP_1) | instid1(VALU_DEP_1)
	v_add_f64_e32 v[138:139], v[214:215], v[138:139]
	v_fma_f64 v[214:215], v[12:13], s[12:13], v[222:223]
	v_add_f64_e32 v[146:147], v[214:215], v[146:147]
	v_fma_f64 v[214:215], v[14:15], s[44:45], v[224:225]
	s_delay_alu instid0(VALU_DEP_1) | instskip(SKIP_1) | instid1(VALU_DEP_1)
	v_add_f64_e32 v[138:139], v[214:215], v[138:139]
	v_fma_f64 v[214:215], v[8:9], s[16:17], v[228:229]
	;; [unrolled: 5-line block ×4, first 2 shown]
	v_add_f64_e32 v[214:215], v[214:215], v[146:147]
	v_mul_f64_e32 v[146:147], s[28:29], v[212:213]
	s_delay_alu instid0(VALU_DEP_1) | instskip(SKIP_1) | instid1(VALU_DEP_2)
	v_fma_f64 v[216:217], v[2:3], s[30:31], v[146:147]
	v_fma_f64 v[146:147], v[2:3], s[36:37], v[146:147]
	v_add_f64_e32 v[216:217], v[216:217], v[138:139]
	v_fma_f64 v[138:139], v[18:19], s[14:15], v[210:211]
	v_fma_f64 v[210:211], v[12:13], s[12:13], -v[222:223]
	s_delay_alu instid0(VALU_DEP_2) | instskip(NEXT) | instid1(VALU_DEP_2)
	v_add_f64_e32 v[138:139], v[138:139], v[220:221]
	v_add_f64_e32 v[128:129], v[210:211], v[128:129]
	v_fma_f64 v[210:211], v[14:15], s[2:3], v[224:225]
	s_delay_alu instid0(VALU_DEP_1) | instskip(SKIP_2) | instid1(VALU_DEP_2)
	v_add_f64_e32 v[138:139], v[210:211], v[138:139]
	v_fma_f64 v[210:211], v[8:9], s[16:17], -v[228:229]
	v_mul_f64_e32 v[228:229], s[36:37], v[196:197]
	v_add_f64_e32 v[128:129], v[210:211], v[128:129]
	v_fma_f64 v[210:211], v[10:11], s[38:39], v[233:234]
	v_mul_f64_e32 v[233:234], s[28:29], v[200:201]
	s_delay_alu instid0(VALU_DEP_2) | instskip(SKIP_2) | instid1(VALU_DEP_2)
	v_add_f64_e32 v[138:139], v[210:211], v[138:139]
	v_fma_f64 v[210:211], v[4:5], s[26:27], -v[235:236]
	v_mul_f64_e32 v[235:236], s[18:19], v[38:39]
	v_add_f64_e32 v[128:129], v[210:211], v[128:129]
	v_fma_f64 v[210:211], v[6:7], s[34:35], v[237:238]
	v_mul_f64_e32 v[237:238], s[24:25], v[36:37]
	s_delay_alu instid0(VALU_DEP_2) | instskip(SKIP_2) | instid1(VALU_DEP_3)
	v_add_f64_e32 v[138:139], v[210:211], v[138:139]
	v_fma_f64 v[210:211], v[0:1], s[28:29], -v[239:240]
	v_mul_f64_e32 v[239:240], s[10:11], v[204:205]
	v_add_f64_e32 v[220:221], v[146:147], v[138:139]
	s_delay_alu instid0(VALU_DEP_3) | instskip(SKIP_1) | instid1(VALU_DEP_1)
	v_add_f64_e32 v[218:219], v[210:211], v[128:129]
	v_mul_f64_e32 v[128:129], s[2:3], v[208:209]
	v_fma_f64 v[138:139], v[16:17], s[12:13], v[128:129]
	v_fma_f64 v[128:129], v[16:17], s[12:13], -v[128:129]
	s_delay_alu instid0(VALU_DEP_2) | instskip(SKIP_1) | instid1(VALU_DEP_3)
	v_add_f64_e32 v[48:49], v[138:139], v[48:49]
	v_mul_f64_e32 v[138:139], s[12:13], v[206:207]
	v_add_f64_e32 v[128:129], v[128:129], v[226:227]
	s_delay_alu instid0(VALU_DEP_2) | instskip(SKIP_1) | instid1(VALU_DEP_2)
	v_fma_f64 v[146:147], v[18:19], s[44:45], v[138:139]
	v_fma_f64 v[138:139], v[18:19], s[2:3], v[138:139]
	v_add_f64_e32 v[140:141], v[146:147], v[140:141]
	v_mul_f64_e32 v[146:147], s[40:41], v[202:203]
	s_delay_alu instid0(VALU_DEP_3) | instskip(NEXT) | instid1(VALU_DEP_2)
	v_add_f64_e32 v[130:131], v[138:139], v[130:131]
	v_fma_f64 v[210:211], v[12:13], s[22:23], v[146:147]
	v_fma_f64 v[138:139], v[12:13], s[22:23], -v[146:147]
	s_delay_alu instid0(VALU_DEP_2) | instskip(SKIP_1) | instid1(VALU_DEP_3)
	v_add_f64_e32 v[48:49], v[210:211], v[48:49]
	v_mul_f64_e32 v[210:211], s[22:23], v[198:199]
	v_add_f64_e32 v[128:129], v[138:139], v[128:129]
	s_delay_alu instid0(VALU_DEP_2) | instskip(SKIP_1) | instid1(VALU_DEP_2)
	v_fma_f64 v[222:223], v[14:15], s[14:15], v[210:211]
	v_fma_f64 v[138:139], v[14:15], s[40:41], v[210:211]
	v_add_f64_e32 v[140:141], v[222:223], v[140:141]
	v_fma_f64 v[222:223], v[8:9], s[28:29], v[228:229]
	s_delay_alu instid0(VALU_DEP_3) | instskip(SKIP_1) | instid1(VALU_DEP_3)
	v_add_f64_e32 v[130:131], v[138:139], v[130:131]
	v_fma_f64 v[138:139], v[8:9], s[28:29], -v[228:229]
	v_add_f64_e32 v[48:49], v[222:223], v[48:49]
	v_fma_f64 v[222:223], v[10:11], s[30:31], v[233:234]
	s_delay_alu instid0(VALU_DEP_3) | instskip(SKIP_1) | instid1(VALU_DEP_3)
	v_add_f64_e32 v[128:129], v[138:139], v[128:129]
	v_fma_f64 v[138:139], v[10:11], s[36:37], v[233:234]
	v_add_f64_e32 v[140:141], v[222:223], v[140:141]
	v_fma_f64 v[222:223], v[4:5], s[24:25], v[235:236]
	s_delay_alu instid0(VALU_DEP_3) | instskip(SKIP_1) | instid1(VALU_DEP_3)
	v_add_f64_e32 v[130:131], v[138:139], v[130:131]
	v_fma_f64 v[138:139], v[4:5], s[24:25], -v[235:236]
	v_add_f64_e32 v[48:49], v[222:223], v[48:49]
	v_fma_f64 v[222:223], v[6:7], s[42:43], v[237:238]
	s_delay_alu instid0(VALU_DEP_3) | instskip(SKIP_2) | instid1(VALU_DEP_4)
	v_add_f64_e32 v[128:129], v[138:139], v[128:129]
	v_fma_f64 v[138:139], v[6:7], s[18:19], v[237:238]
	v_mul_f64_e32 v[237:238], s[12:13], v[36:37]
	v_add_f64_e32 v[140:141], v[222:223], v[140:141]
	v_fma_f64 v[222:223], v[0:1], s[16:17], v[239:240]
	s_delay_alu instid0(VALU_DEP_4) | instskip(SKIP_2) | instid1(VALU_DEP_4)
	v_add_f64_e32 v[130:131], v[138:139], v[130:131]
	v_fma_f64 v[138:139], v[0:1], s[16:17], -v[239:240]
	v_mul_f64_e32 v[239:240], s[42:43], v[204:205]
	v_add_f64_e32 v[222:223], v[222:223], v[48:49]
	v_mul_f64_e32 v[48:49], s[16:17], v[212:213]
	s_delay_alu instid0(VALU_DEP_4) | instskip(SKIP_1) | instid1(VALU_DEP_3)
	v_add_f64_e32 v[226:227], v[138:139], v[128:129]
	v_mul_f64_e32 v[138:139], s[36:37], v[202:203]
	v_fma_f64 v[224:225], v[2:3], s[38:39], v[48:49]
	v_fma_f64 v[48:49], v[2:3], s[10:11], v[48:49]
	s_delay_alu instid0(VALU_DEP_2) | instskip(NEXT) | instid1(VALU_DEP_2)
	v_add_f64_e32 v[224:225], v[224:225], v[140:141]
	v_add_f64_e32 v[228:229], v[48:49], v[130:131]
	v_mul_f64_e32 v[48:49], s[38:39], v[208:209]
	v_fma_f64 v[140:141], v[12:13], s[28:29], v[138:139]
	s_delay_alu instid0(VALU_DEP_2) | instskip(SKIP_1) | instid1(VALU_DEP_2)
	v_fma_f64 v[128:129], v[16:17], s[16:17], v[48:49]
	v_fma_f64 v[48:49], v[16:17], s[16:17], -v[48:49]
	v_add_f64_e32 v[52:53], v[128:129], v[52:53]
	v_mul_f64_e32 v[128:129], s[16:17], v[206:207]
	s_delay_alu instid0(VALU_DEP_3) | instskip(NEXT) | instid1(VALU_DEP_3)
	v_add_f64_e32 v[48:49], v[48:49], v[230:231]
	v_add_f64_e32 v[52:53], v[140:141], v[52:53]
	s_delay_alu instid0(VALU_DEP_3) | instskip(SKIP_2) | instid1(VALU_DEP_3)
	v_fma_f64 v[130:131], v[18:19], s[10:11], v[128:129]
	v_mul_f64_e32 v[140:141], s[28:29], v[198:199]
	v_fma_f64 v[128:129], v[18:19], s[38:39], v[128:129]
	v_add_f64_e32 v[130:131], v[130:131], v[142:143]
	s_delay_alu instid0(VALU_DEP_3) | instskip(NEXT) | instid1(VALU_DEP_3)
	v_fma_f64 v[142:143], v[14:15], s[30:31], v[140:141]
	v_add_f64_e32 v[128:129], v[128:129], v[132:133]
	s_delay_alu instid0(VALU_DEP_2) | instskip(SKIP_1) | instid1(VALU_DEP_1)
	v_add_f64_e32 v[130:131], v[142:143], v[130:131]
	v_mul_f64_e32 v[142:143], s[20:21], v[196:197]
	v_fma_f64 v[146:147], v[8:9], s[26:27], v[142:143]
	s_delay_alu instid0(VALU_DEP_1) | instskip(SKIP_1) | instid1(VALU_DEP_1)
	v_add_f64_e32 v[52:53], v[146:147], v[52:53]
	v_mul_f64_e32 v[146:147], s[26:27], v[200:201]
	v_fma_f64 v[210:211], v[10:11], s[34:35], v[146:147]
	s_delay_alu instid0(VALU_DEP_1) | instskip(SKIP_1) | instid1(VALU_DEP_1)
	;; [unrolled: 4-line block ×3, first 2 shown]
	v_add_f64_e32 v[52:53], v[233:234], v[52:53]
	v_fma_f64 v[233:234], v[6:7], s[2:3], v[237:238]
	v_add_f64_e32 v[130:131], v[233:234], v[130:131]
	v_fma_f64 v[233:234], v[0:1], s[24:25], v[239:240]
	s_delay_alu instid0(VALU_DEP_1) | instskip(SKIP_1) | instid1(VALU_DEP_1)
	v_add_f64_e32 v[233:234], v[233:234], v[52:53]
	v_mul_f64_e32 v[52:53], s[24:25], v[212:213]
	v_fma_f64 v[235:236], v[2:3], s[18:19], v[52:53]
	v_fma_f64 v[52:53], v[2:3], s[42:43], v[52:53]
	s_delay_alu instid0(VALU_DEP_2) | instskip(SKIP_1) | instid1(VALU_DEP_1)
	v_add_f64_e32 v[235:236], v[235:236], v[130:131]
	v_fma_f64 v[130:131], v[12:13], s[28:29], -v[138:139]
	v_add_f64_e32 v[48:49], v[130:131], v[48:49]
	v_fma_f64 v[130:131], v[14:15], s[36:37], v[140:141]
	s_delay_alu instid0(VALU_DEP_1) | instskip(SKIP_1) | instid1(VALU_DEP_1)
	v_add_f64_e32 v[128:129], v[130:131], v[128:129]
	v_fma_f64 v[130:131], v[8:9], s[26:27], -v[142:143]
	v_add_f64_e32 v[48:49], v[130:131], v[48:49]
	v_fma_f64 v[130:131], v[10:11], s[20:21], v[146:147]
	s_delay_alu instid0(VALU_DEP_1) | instskip(SKIP_1) | instid1(VALU_DEP_1)
	v_add_f64_e32 v[128:129], v[130:131], v[128:129]
	v_fma_f64 v[130:131], v[4:5], s[12:13], -v[210:211]
	v_add_f64_e32 v[48:49], v[130:131], v[48:49]
	v_fma_f64 v[130:131], v[6:7], s[44:45], v[237:238]
	s_delay_alu instid0(VALU_DEP_1) | instskip(SKIP_1) | instid1(VALU_DEP_2)
	v_add_f64_e32 v[128:129], v[130:131], v[128:129]
	v_fma_f64 v[130:131], v[0:1], s[24:25], -v[239:240]
	v_add_f64_e32 v[239:240], v[52:53], v[128:129]
	s_delay_alu instid0(VALU_DEP_2) | instskip(SKIP_2) | instid1(VALU_DEP_2)
	v_add_f64_e32 v[237:238], v[130:131], v[48:49]
	v_mul_f64_e32 v[48:49], s[34:35], v[208:209]
	v_mul_f64_e32 v[130:131], s[18:19], v[202:203]
	v_fma_f64 v[52:53], v[16:17], s[26:27], v[48:49]
	s_delay_alu instid0(VALU_DEP_2) | instskip(SKIP_1) | instid1(VALU_DEP_3)
	v_fma_f64 v[132:133], v[12:13], s[24:25], v[130:131]
	v_fma_f64 v[48:49], v[16:17], s[26:27], -v[48:49]
	v_add_f64_e32 v[52:53], v[52:53], v[54:55]
	v_mul_f64_e32 v[54:55], s[26:27], v[206:207]
	s_delay_alu instid0(VALU_DEP_3) | instskip(NEXT) | instid1(VALU_DEP_3)
	v_add_f64_e32 v[46:47], v[48:49], v[46:47]
	v_add_f64_e32 v[52:53], v[132:133], v[52:53]
	s_delay_alu instid0(VALU_DEP_3) | instskip(SKIP_2) | instid1(VALU_DEP_3)
	v_fma_f64 v[128:129], v[18:19], s[20:21], v[54:55]
	v_mul_f64_e32 v[132:133], s[24:25], v[198:199]
	v_fma_f64 v[48:49], v[18:19], s[34:35], v[54:55]
	v_add_f64_e32 v[128:129], v[128:129], v[144:145]
	s_delay_alu instid0(VALU_DEP_3) | instskip(NEXT) | instid1(VALU_DEP_3)
	v_fma_f64 v[138:139], v[14:15], s[42:43], v[132:133]
	v_add_f64_e32 v[44:45], v[48:49], v[44:45]
	v_fma_f64 v[48:49], v[12:13], s[24:25], -v[130:131]
	s_delay_alu instid0(VALU_DEP_3) | instskip(SKIP_1) | instid1(VALU_DEP_3)
	v_add_f64_e32 v[128:129], v[138:139], v[128:129]
	v_mul_f64_e32 v[138:139], s[44:45], v[196:197]
	v_add_f64_e32 v[46:47], v[48:49], v[46:47]
	v_fma_f64 v[48:49], v[14:15], s[18:19], v[132:133]
	s_delay_alu instid0(VALU_DEP_3) | instskip(NEXT) | instid1(VALU_DEP_2)
	v_fma_f64 v[140:141], v[8:9], s[12:13], v[138:139]
	v_add_f64_e32 v[44:45], v[48:49], v[44:45]
	v_fma_f64 v[48:49], v[8:9], s[12:13], -v[138:139]
	s_delay_alu instid0(VALU_DEP_3) | instskip(SKIP_1) | instid1(VALU_DEP_3)
	v_add_f64_e32 v[52:53], v[140:141], v[52:53]
	v_mul_f64_e32 v[140:141], s[12:13], v[200:201]
	v_add_f64_e32 v[46:47], v[48:49], v[46:47]
	s_delay_alu instid0(VALU_DEP_2) | instskip(SKIP_2) | instid1(VALU_DEP_3)
	v_fma_f64 v[142:143], v[10:11], s[2:3], v[140:141]
	v_fma_f64 v[48:49], v[10:11], s[44:45], v[140:141]
	v_mul_f64_e32 v[140:141], s[34:35], v[204:205]
	v_add_f64_e32 v[128:129], v[142:143], v[128:129]
	v_mul_f64_e32 v[142:143], s[36:37], v[38:39]
	s_delay_alu instid0(VALU_DEP_4) | instskip(NEXT) | instid1(VALU_DEP_2)
	v_add_f64_e32 v[44:45], v[48:49], v[44:45]
	v_fma_f64 v[144:145], v[4:5], s[28:29], v[142:143]
	v_fma_f64 v[48:49], v[4:5], s[28:29], -v[142:143]
	v_mul_f64_e32 v[142:143], s[26:27], v[212:213]
	s_delay_alu instid0(VALU_DEP_3) | instskip(SKIP_1) | instid1(VALU_DEP_4)
	v_add_f64_e32 v[52:53], v[144:145], v[52:53]
	v_mul_f64_e32 v[144:145], s[28:29], v[36:37]
	v_add_f64_e32 v[46:47], v[48:49], v[46:47]
	s_delay_alu instid0(VALU_DEP_2) | instskip(SKIP_1) | instid1(VALU_DEP_2)
	v_fma_f64 v[146:147], v[6:7], s[30:31], v[144:145]
	v_fma_f64 v[48:49], v[6:7], s[36:37], v[144:145]
	v_add_f64_e32 v[128:129], v[146:147], v[128:129]
	v_mul_f64_e32 v[146:147], s[14:15], v[204:205]
	s_delay_alu instid0(VALU_DEP_3) | instskip(NEXT) | instid1(VALU_DEP_2)
	v_add_f64_e32 v[48:49], v[48:49], v[44:45]
	v_fma_f64 v[210:211], v[0:1], s[22:23], v[146:147]
	v_fma_f64 v[44:45], v[0:1], s[22:23], -v[146:147]
	s_delay_alu instid0(VALU_DEP_2) | instskip(SKIP_1) | instid1(VALU_DEP_3)
	v_add_f64_e32 v[242:243], v[210:211], v[52:53]
	v_mul_f64_e32 v[52:53], s[22:23], v[212:213]
	v_add_f64_e32 v[44:45], v[44:45], v[46:47]
	s_delay_alu instid0(VALU_DEP_2) | instskip(SKIP_1) | instid1(VALU_DEP_2)
	v_fma_f64 v[210:211], v[2:3], s[40:41], v[52:53]
	v_fma_f64 v[52:53], v[2:3], s[14:15], v[52:53]
	v_add_f64_e32 v[244:245], v[210:211], v[128:129]
	s_delay_alu instid0(VALU_DEP_2) | instskip(SKIP_1) | instid1(VALU_DEP_1)
	v_add_f64_e32 v[46:47], v[52:53], v[48:49]
	v_mul_f64_e32 v[48:49], s[36:37], v[208:209]
	v_fma_f64 v[52:53], v[16:17], s[28:29], v[48:49]
	s_delay_alu instid0(VALU_DEP_1) | instskip(SKIP_1) | instid1(VALU_DEP_1)
	v_add_f64_e32 v[42:43], v[52:53], v[42:43]
	v_mul_f64_e32 v[52:53], s[28:29], v[206:207]
	v_fma_f64 v[54:55], v[18:19], s[30:31], v[52:53]
	s_delay_alu instid0(VALU_DEP_1) | instskip(SKIP_1) | instid1(VALU_DEP_1)
	v_add_f64_e32 v[40:41], v[54:55], v[40:41]
	v_mul_f64_e32 v[54:55], s[10:11], v[202:203]
	v_fma_f64 v[128:129], v[12:13], s[16:17], v[54:55]
	s_delay_alu instid0(VALU_DEP_1) | instskip(SKIP_1) | instid1(VALU_DEP_1)
	v_add_f64_e32 v[42:43], v[128:129], v[42:43]
	v_mul_f64_e32 v[128:129], s[16:17], v[198:199]
	v_fma_f64 v[130:131], v[14:15], s[38:39], v[128:129]
	s_delay_alu instid0(VALU_DEP_1) | instskip(SKIP_1) | instid1(VALU_DEP_1)
	v_add_f64_e32 v[40:41], v[130:131], v[40:41]
	v_mul_f64_e32 v[130:131], s[42:43], v[196:197]
	v_fma_f64 v[132:133], v[8:9], s[24:25], v[130:131]
	s_delay_alu instid0(VALU_DEP_1) | instskip(SKIP_1) | instid1(VALU_DEP_1)
	v_add_f64_e32 v[42:43], v[132:133], v[42:43]
	v_mul_f64_e32 v[132:133], s[24:25], v[200:201]
	v_fma_f64 v[138:139], v[10:11], s[18:19], v[132:133]
	s_delay_alu instid0(VALU_DEP_1) | instskip(SKIP_1) | instid1(VALU_DEP_1)
	v_add_f64_e32 v[40:41], v[138:139], v[40:41]
	v_mul_f64_e32 v[138:139], s[14:15], v[38:39]
	v_fma_f64 v[38:39], v[4:5], s[22:23], v[138:139]
	s_delay_alu instid0(VALU_DEP_1) | instskip(SKIP_1) | instid1(VALU_DEP_1)
	v_add_f64_e32 v[38:39], v[38:39], v[42:43]
	v_mul_f64_e32 v[42:43], s[22:23], v[36:37]
	v_fma_f64 v[36:37], v[6:7], s[40:41], v[42:43]
	v_fma_f64 v[42:43], v[6:7], s[14:15], v[42:43]
	;; [unrolled: 1-line block ×3, first 2 shown]
	s_delay_alu instid0(VALU_DEP_3) | instskip(SKIP_1) | instid1(VALU_DEP_1)
	v_add_f64_e32 v[40:41], v[36:37], v[40:41]
	v_fma_f64 v[36:37], v[0:1], s[26:27], v[140:141]
	v_add_f64_e32 v[36:37], v[36:37], v[38:39]
	v_fma_f64 v[38:39], v[2:3], s[20:21], v[142:143]
	s_delay_alu instid0(VALU_DEP_1)
	v_add_f64_e32 v[38:39], v[38:39], v[40:41]
	v_fma_f64 v[40:41], v[16:17], s[28:29], -v[48:49]
	v_fma_f64 v[48:49], v[18:19], s[36:37], v[52:53]
	v_fma_f64 v[52:53], v[12:13], s[16:17], -v[54:55]
	v_fma_f64 v[16:17], v[16:17], s[24:25], -v[24:25]
	v_fma_f64 v[18:19], v[18:19], s[18:19], v[26:27]
	v_fma_f64 v[12:13], v[12:13], s[26:27], -v[28:29]
	v_add_f64_e32 v[40:41], v[40:41], v[194:195]
	v_add_f64_e32 v[48:49], v[48:49], v[192:193]
	;; [unrolled: 1-line block ×4, first 2 shown]
	s_delay_alu instid0(VALU_DEP_4) | instskip(SKIP_3) | instid1(VALU_DEP_3)
	v_add_f64_e32 v[40:41], v[52:53], v[40:41]
	v_fma_f64 v[52:53], v[14:15], s[10:11], v[128:129]
	v_fma_f64 v[14:15], v[14:15], s[20:21], v[30:31]
	v_add_f64_e32 v[12:13], v[12:13], v[16:17]
	v_add_f64_e32 v[48:49], v[52:53], v[48:49]
	v_fma_f64 v[52:53], v[8:9], s[24:25], -v[130:131]
	v_fma_f64 v[8:9], v[8:9], s[22:23], -v[32:33]
	v_add_f64_e32 v[14:15], v[14:15], v[18:19]
	s_delay_alu instid0(VALU_DEP_3) | instskip(SKIP_3) | instid1(VALU_DEP_3)
	v_add_f64_e32 v[40:41], v[52:53], v[40:41]
	v_fma_f64 v[52:53], v[10:11], s[42:43], v[132:133]
	v_fma_f64 v[10:11], v[10:11], s[14:15], v[34:35]
	v_add_f64_e32 v[8:9], v[8:9], v[12:13]
	v_add_f64_e32 v[48:49], v[52:53], v[48:49]
	v_fma_f64 v[52:53], v[4:5], s[22:23], -v[138:139]
	v_fma_f64 v[4:5], v[4:5], s[16:17], -v[180:181]
	v_add_f64_e32 v[10:11], v[10:11], v[14:15]
	s_delay_alu instid0(VALU_DEP_4) | instskip(NEXT) | instid1(VALU_DEP_4)
	v_add_f64_e32 v[42:43], v[42:43], v[48:49]
	v_add_f64_e32 v[40:41], v[52:53], v[40:41]
	v_fma_f64 v[48:49], v[0:1], s[26:27], -v[140:141]
	v_fma_f64 v[52:53], v[2:3], s[34:35], v[142:143]
	v_fma_f64 v[0:1], v[0:1], s[12:13], -v[136:137]
	v_fma_f64 v[2:3], v[2:3], s[2:3], v[134:135]
	v_add_f64_e32 v[4:5], v[4:5], v[8:9]
	v_add_f64_e32 v[6:7], v[6:7], v[10:11]
	;; [unrolled: 1-line block ×4, first 2 shown]
	s_delay_alu instid0(VALU_DEP_4) | instskip(NEXT) | instid1(VALU_DEP_4)
	v_add_f64_e32 v[180:181], v[0:1], v[4:5]
	v_add_f64_e32 v[182:183], v[2:3], v[6:7]
	ds_store_b128 v50, v[214:217] offset:32
	ds_store_b128 v50, v[222:225] offset:48
	;; [unrolled: 1-line block ×11, first 2 shown]
	ds_store_b128 v50, v[184:187]
	ds_store_b128 v50, v[180:183] offset:192
	global_wb scope:SCOPE_SE
	s_wait_dscnt 0x0
	s_barrier_signal -1
	s_barrier_wait -1
	global_inv scope:SCOPE_SE
	ds_load_b128 v[184:187], v51
	ds_load_b128 v[188:191], v51 offset:1248
	ds_load_b128 v[196:199], v51 offset:2704
	;; [unrolled: 1-line block ×11, first 2 shown]
	s_and_saveexec_b32 s2, vcc_lo
	s_cbranch_execz .LBB0_7
; %bb.6:
	ds_load_b128 v[180:183], v51 offset:2496
	ds_load_b128 v[0:3], v51 offset:5200
	s_wait_dscnt 0x0
	scratch_store_b128 off, v[0:3], off offset:4 ; 16-byte Folded Spill
	ds_load_b128 v[0:3], v51 offset:7904
	s_wait_dscnt 0x0
	scratch_store_b128 off, v[0:3], off offset:36 ; 16-byte Folded Spill
	;; [unrolled: 3-line block ×5, first 2 shown]
.LBB0_7:
	s_wait_alu 0xfffe
	s_or_b32 exec_lo, exec_lo, s2
	s_wait_dscnt 0x5
	v_mul_f64_e32 v[0:1], v[122:123], v[224:225]
	s_wait_dscnt 0x1
	v_mul_f64_e32 v[2:3], v[126:127], v[228:229]
	v_mul_f64_e32 v[4:5], v[110:111], v[216:217]
	s_wait_dscnt 0x0
	v_mul_f64_e32 v[6:7], v[114:115], v[220:221]
	v_mul_f64_e32 v[8:9], v[90:91], v[196:197]
	;; [unrolled: 1-line block ×17, first 2 shown]
	s_mov_b32 s2, 0xe8584caa
	s_mov_b32 s3, 0xbfebb67a
	;; [unrolled: 1-line block ×3, first 2 shown]
	s_wait_alu 0xfffe
	s_mov_b32 s8, s2
	global_wb scope:SCOPE_SE
	s_wait_storecnt 0x0
	s_barrier_signal -1
	s_barrier_wait -1
	global_inv scope:SCOPE_SE
	v_fma_f64 v[0:1], v[120:121], v[226:227], -v[0:1]
	v_fma_f64 v[2:3], v[124:125], v[230:231], -v[2:3]
	;; [unrolled: 1-line block ×5, first 2 shown]
	v_fma_f64 v[10:11], v[120:121], v[224:225], v[10:11]
	v_fma_f64 v[12:13], v[124:125], v[228:229], v[12:13]
	v_fma_f64 v[14:15], v[80:81], v[194:195], -v[14:15]
	v_fma_f64 v[16:17], v[108:109], v[216:217], v[16:17]
	v_fma_f64 v[18:19], v[112:113], v[220:221], v[18:19]
	;; [unrolled: 1-line block ×4, first 2 shown]
	v_fma_f64 v[24:25], v[104:105], v[210:211], -v[24:25]
	v_fma_f64 v[26:27], v[100:101], v[212:213], v[26:27]
	v_fma_f64 v[28:29], v[100:101], v[214:215], -v[28:29]
	v_fma_f64 v[30:31], v[80:81], v[192:193], v[30:31]
	v_fma_f64 v[34:35], v[92:93], v[200:201], v[34:35]
	v_fma_f64 v[36:37], v[92:93], v[202:203], -v[36:37]
	v_fma_f64 v[38:39], v[84:85], v[204:205], v[38:39]
	v_fma_f64 v[40:41], v[84:85], v[206:207], -v[40:41]
	v_add_f64_e32 v[32:33], v[0:1], v[2:3]
	v_add_f64_e64 v[82:83], v[0:1], -v[2:3]
	v_add_f64_e32 v[42:43], v[4:5], v[6:7]
	v_add_f64_e64 v[88:89], v[4:5], -v[6:7]
	v_add_f64_e32 v[0:1], v[8:9], v[0:1]
	v_add_f64_e32 v[44:45], v[10:11], v[12:13]
	v_add_f64_e64 v[46:47], v[10:11], -v[12:13]
	v_add_f64_e32 v[4:5], v[14:15], v[4:5]
	;; [unrolled: 3-line block ×3, first 2 shown]
	v_add_f64_e32 v[54:55], v[22:23], v[26:27]
	v_add_f64_e32 v[80:81], v[24:25], v[28:29]
	v_add_f64_e64 v[92:93], v[24:25], -v[28:29]
	v_add_f64_e32 v[24:25], v[186:187], v[24:25]
	v_add_f64_e32 v[16:17], v[30:31], v[16:17]
	;; [unrolled: 1-line block ×3, first 2 shown]
	v_fma_f64 v[32:33], v[32:33], -0.5, v[8:9]
	v_add_f64_e32 v[8:9], v[188:189], v[34:35]
	v_fma_f64 v[42:43], v[42:43], -0.5, v[14:15]
	v_fma_f64 v[44:45], v[44:45], -0.5, v[20:21]
	v_add_f64_e64 v[20:21], v[36:37], -v[40:41]
	v_add_f64_e32 v[36:37], v[190:191], v[36:37]
	v_fma_f64 v[48:49], v[48:49], -0.5, v[30:31]
	v_add_f64_e32 v[10:11], v[10:11], v[12:13]
	v_add_f64_e32 v[12:13], v[0:1], v[2:3]
	v_fma_f64 v[14:15], v[54:55], -0.5, v[184:185]
	v_fma_f64 v[30:31], v[80:81], -0.5, v[186:187]
	v_add_f64_e32 v[24:25], v[24:25], v[28:29]
	v_add_f64_e32 v[16:17], v[16:17], v[18:19]
	;; [unrolled: 1-line block ×3, first 2 shown]
	v_fma_f64 v[86:87], v[86:87], -0.5, v[190:191]
	s_wait_alu 0xfffe
	v_fma_f64 v[84:85], v[46:47], s[8:9], v[32:33]
	v_fma_f64 v[32:33], v[46:47], s[2:3], v[32:33]
	v_add_f64_e32 v[46:47], v[34:35], v[38:39]
	v_fma_f64 v[90:91], v[52:53], s[8:9], v[42:43]
	v_fma_f64 v[42:43], v[52:53], s[2:3], v[42:43]
	v_add_f64_e32 v[52:53], v[184:185], v[22:23]
	v_add_f64_e64 v[22:23], v[22:23], -v[26:27]
	v_fma_f64 v[54:55], v[82:83], s[2:3], v[44:45]
	v_fma_f64 v[44:45], v[82:83], s[8:9], v[44:45]
	v_add_f64_e64 v[34:35], v[34:35], -v[38:39]
	v_fma_f64 v[94:95], v[88:89], s[2:3], v[48:49]
	v_fma_f64 v[48:49], v[88:89], s[8:9], v[48:49]
	v_add_f64_e32 v[28:29], v[8:9], v[38:39]
	v_add_f64_e32 v[36:37], v[36:37], v[40:41]
	v_fma_f64 v[38:39], v[92:93], s[2:3], v[14:15]
	v_fma_f64 v[40:41], v[92:93], s[8:9], v[14:15]
	v_add_f64_e32 v[2:3], v[24:25], v[12:13]
	v_add_f64_e64 v[6:7], v[24:25], -v[12:13]
	v_mul_f64_e32 v[80:81], s[2:3], v[84:85]
	v_mul_f64_e32 v[84:85], 0.5, v[84:85]
	v_mul_f64_e32 v[82:83], s[2:3], v[32:33]
	v_mul_f64_e32 v[32:33], -0.5, v[32:33]
	v_fma_f64 v[46:47], v[46:47], -0.5, v[188:189]
	v_mul_f64_e32 v[88:89], s[2:3], v[90:91]
	v_mul_f64_e32 v[90:91], 0.5, v[90:91]
	v_mul_f64_e32 v[100:101], s[2:3], v[42:43]
	v_mul_f64_e32 v[42:43], -0.5, v[42:43]
	v_add_f64_e32 v[26:27], v[52:53], v[26:27]
	v_fma_f64 v[52:53], v[22:23], s[8:9], v[30:31]
	v_fma_f64 v[30:31], v[22:23], s[2:3], v[30:31]
	v_add_f64_e32 v[8:9], v[28:29], v[16:17]
	v_add_f64_e64 v[12:13], v[28:29], -v[16:17]
	v_add_f64_e64 v[14:15], v[36:37], -v[18:19]
	v_fma_f64 v[80:81], v[54:55], 0.5, v[80:81]
	v_fma_f64 v[54:55], v[54:55], s[8:9], v[84:85]
	v_fma_f64 v[82:83], v[44:45], -0.5, v[82:83]
	v_fma_f64 v[32:33], v[44:45], s[8:9], v[32:33]
	v_fma_f64 v[44:45], v[20:21], s[2:3], v[46:47]
	;; [unrolled: 1-line block ×3, first 2 shown]
	v_fma_f64 v[88:89], v[94:95], 0.5, v[88:89]
	v_fma_f64 v[90:91], v[94:95], s[8:9], v[90:91]
	v_fma_f64 v[46:47], v[20:21], s[8:9], v[46:47]
	;; [unrolled: 1-line block ×3, first 2 shown]
	v_fma_f64 v[92:93], v[48:49], -0.5, v[100:101]
	v_fma_f64 v[48:49], v[48:49], s[8:9], v[42:43]
	v_add_f64_e32 v[0:1], v[26:27], v[10:11]
	v_add_f64_e64 v[4:5], v[26:27], -v[10:11]
	v_add_f64_e32 v[10:11], v[36:37], v[18:19]
	v_add_f64_e32 v[16:17], v[38:39], v[80:81]
	;; [unrolled: 1-line block ×5, first 2 shown]
	v_add_f64_e64 v[24:25], v[38:39], -v[80:81]
	v_add_f64_e64 v[26:27], v[52:53], -v[54:55]
	;; [unrolled: 1-line block ×4, first 2 shown]
	v_add_f64_e32 v[32:33], v[44:45], v[88:89]
	v_add_f64_e32 v[34:35], v[84:85], v[90:91]
	;; [unrolled: 1-line block ×4, first 2 shown]
	v_add_f64_e64 v[40:41], v[44:45], -v[88:89]
	v_add_f64_e64 v[42:43], v[84:85], -v[90:91]
	;; [unrolled: 1-line block ×4, first 2 shown]
	ds_store_b128 v241, v[0:3]
	ds_store_b128 v241, v[16:19] offset:208
	ds_store_b128 v241, v[20:23] offset:416
	ds_store_b128 v241, v[4:7] offset:624
	ds_store_b128 v241, v[24:27] offset:832
	ds_store_b128 v241, v[28:31] offset:1040
	ds_store_b128 v232, v[8:11]
	ds_store_b128 v232, v[32:35] offset:208
	ds_store_b128 v232, v[36:39] offset:416
	;; [unrolled: 1-line block ×5, first 2 shown]
	s_and_saveexec_b32 s10, vcc_lo
	s_cbranch_execz .LBB0_9
; %bb.8:
	s_clause 0x3
	scratch_load_b128 v[20:23], off, off offset:372 th:TH_LOAD_LU
	scratch_load_b128 v[26:29], off, off offset:20 th:TH_LOAD_LU
	;; [unrolled: 1-line block ×4, first 2 shown]
	s_wait_loadcnt 0x2
	v_mul_f64_e32 v[0:1], v[22:23], v[26:27]
	v_mul_f64_e32 v[4:5], v[22:23], v[28:29]
	scratch_load_b128 v[22:25], off, off offset:4 th:TH_LOAD_LU ; 16-byte Folded Reload
	s_wait_loadcnt 0x2
	v_mul_f64_e32 v[2:3], v[62:63], v[36:37]
	v_mul_f64_e32 v[6:7], v[62:63], v[38:39]
	s_wait_loadcnt 0x1
	v_mul_f64_e32 v[12:13], v[66:67], v[32:33]
	v_mul_f64_e32 v[16:17], v[66:67], v[34:35]
	v_fma_f64 v[0:1], v[20:21], v[28:29], -v[0:1]
	scratch_load_b128 v[28:31], off, off offset:36 th:TH_LOAD_LU ; 16-byte Folded Reload
	v_fma_f64 v[4:5], v[20:21], v[26:27], v[4:5]
	v_fma_f64 v[2:3], v[60:61], v[38:39], -v[2:3]
	v_fma_f64 v[6:7], v[60:61], v[36:37], v[6:7]
	v_fma_f64 v[12:13], v[64:65], v[34:35], -v[12:13]
	v_fma_f64 v[16:17], v[64:65], v[32:33], v[16:17]
	s_delay_alu instid0(VALU_DEP_4)
	v_add_f64_e32 v[20:21], v[0:1], v[2:3]
	s_wait_loadcnt 0x1
	v_mul_f64_e32 v[8:9], v[58:59], v[22:23]
	v_mul_f64_e32 v[18:19], v[58:59], v[24:25]
	s_wait_loadcnt 0x0
	v_mul_f64_e32 v[10:11], v[70:71], v[28:29]
	s_delay_alu instid0(VALU_DEP_3) | instskip(SKIP_1) | instid1(VALU_DEP_4)
	v_fma_f64 v[8:9], v[56:57], v[24:25], -v[8:9]
	v_mul_f64_e32 v[14:15], v[70:71], v[30:31]
	v_fma_f64 v[18:19], v[56:57], v[22:23], v[18:19]
	v_add_f64_e32 v[22:23], v[4:5], v[6:7]
	v_add_f64_e64 v[24:25], v[4:5], -v[6:7]
	v_fma_f64 v[10:11], v[68:69], v[30:31], -v[10:11]
	v_fma_f64 v[20:21], v[20:21], -0.5, v[8:9]
	v_fma_f64 v[14:15], v[68:69], v[28:29], v[14:15]
	v_add_f64_e64 v[28:29], v[0:1], -v[2:3]
	v_fma_f64 v[22:23], v[22:23], -0.5, v[18:19]
	v_add_f64_e32 v[0:1], v[8:9], v[0:1]
	v_add_f64_e32 v[4:5], v[18:19], v[4:5]
	;; [unrolled: 1-line block ×3, first 2 shown]
	v_fma_f64 v[32:33], v[24:25], s[2:3], v[20:21]
	v_fma_f64 v[20:21], v[24:25], s[8:9], v[20:21]
	v_add_f64_e32 v[30:31], v[14:15], v[16:17]
	v_add_f64_e64 v[24:25], v[14:15], -v[16:17]
	v_add_f64_e32 v[34:35], v[182:183], v[10:11]
	v_add_f64_e64 v[8:9], v[10:11], -v[12:13]
	v_add_f64_e32 v[10:11], v[180:181], v[14:15]
	v_add_f64_e32 v[4:5], v[4:5], v[6:7]
	v_fma_f64 v[14:15], v[26:27], -0.5, v[182:183]
	v_fma_f64 v[26:27], v[28:29], s[8:9], v[22:23]
	v_fma_f64 v[22:23], v[28:29], s[2:3], v[22:23]
	v_mul_f64_e32 v[28:29], 0.5, v[20:21]
	v_fma_f64 v[18:19], v[30:31], -0.5, v[180:181]
	v_mul_f64_e32 v[20:21], s[2:3], v[20:21]
	v_mul_f64_e32 v[30:31], -0.5, v[32:33]
	v_add_f64_e32 v[10:11], v[10:11], v[16:17]
	v_mul_f64_e32 v[32:33], s[2:3], v[32:33]
	v_add_f64_e32 v[12:13], v[34:35], v[12:13]
	v_add_f64_e32 v[34:35], v[0:1], v[2:3]
	v_fma_f64 v[16:17], v[24:25], s[2:3], v[14:15]
	v_fma_f64 v[24:25], v[24:25], s[8:9], v[14:15]
	;; [unrolled: 1-line block ×5, first 2 shown]
	v_fma_f64 v[20:21], v[22:23], 0.5, v[20:21]
	v_fma_f64 v[14:15], v[26:27], s[8:9], v[30:31]
	v_fma_f64 v[26:27], v[26:27], -0.5, v[32:33]
	v_add_f64_e64 v[0:1], v[10:11], -v[4:5]
	v_add_f64_e32 v[6:7], v[12:13], v[34:35]
	v_add_f64_e32 v[4:5], v[10:11], v[4:5]
	v_add_f64_e64 v[2:3], v[12:13], -v[34:35]
	v_add_f64_e32 v[18:19], v[24:25], v[28:29]
	v_add_f64_e64 v[22:23], v[24:25], -v[28:29]
	s_clause 0x1
	scratch_load_b32 v24, off, off th:TH_LOAD_LU
	scratch_load_b32 v25, off, off offset:304 th:TH_LOAD_LU
	v_add_f64_e64 v[10:11], v[16:17], -v[14:15]
	v_add_f64_e32 v[14:15], v[16:17], v[14:15]
	v_add_f64_e32 v[16:17], v[8:9], v[20:21]
	;; [unrolled: 1-line block ×3, first 2 shown]
	v_add_f64_e64 v[20:21], v[8:9], -v[20:21]
	v_add_f64_e64 v[8:9], v[36:37], -v[26:27]
	s_wait_loadcnt 0x0
	v_lshl_add_u32 v24, v25, 4, v24
	ds_store_b128 v24, v[4:7] offset:14976
	ds_store_b128 v24, v[16:19] offset:15184
	ds_store_b128 v24, v[12:15] offset:15392
	ds_store_b128 v24, v[0:3] offset:15600
	ds_store_b128 v24, v[20:23] offset:15808
	ds_store_b128 v24, v[8:11] offset:16016
.LBB0_9:
	s_wait_alu 0xfffe
	s_or_b32 exec_lo, exec_lo, s10
	global_wb scope:SCOPE_SE
	s_wait_dscnt 0x0
	s_barrier_signal -1
	s_barrier_wait -1
	global_inv scope:SCOPE_SE
	ds_load_b128 v[0:3], v51 offset:1248
	ds_load_b128 v[6:9], v51 offset:14976
	;; [unrolled: 1-line block ×4, first 2 shown]
	ds_load_b128 v[52:55], v51
	ds_load_b128 v[18:21], v51 offset:3744
	ds_load_b128 v[22:25], v51 offset:12480
	;; [unrolled: 1-line block ×8, first 2 shown]
	s_mov_b32 s12, 0x4267c47c
	s_mov_b32 s14, 0xe00740e9
	;; [unrolled: 1-line block ×13, first 2 shown]
	s_wait_dscnt 0xc
	v_mul_f64_e32 v[4:5], v[118:119], v[2:3]
	v_mul_f64_e32 v[56:57], v[118:119], v[0:1]
	s_wait_dscnt 0xb
	v_mul_f64_e32 v[58:59], v[178:179], v[6:7]
	s_wait_dscnt 0xa
	v_mul_f64_e32 v[60:61], v[78:79], v[10:11]
	v_mul_f64_e32 v[64:65], v[78:79], v[12:13]
	s_wait_dscnt 0x7
	v_mul_f64_e32 v[66:67], v[74:75], v[18:19]
	s_wait_dscnt 0x6
	v_mul_f64_e32 v[68:69], v[170:171], v[22:23]
	v_mul_f64_e32 v[70:71], v[74:75], v[20:21]
	;; [unrolled: 1-line block ×4, first 2 shown]
	s_wait_dscnt 0x5
	v_mul_f64_e32 v[82:83], v[98:99], v[26:27]
	v_mul_f64_e32 v[84:85], v[170:171], v[24:25]
	s_wait_dscnt 0x2
	v_mul_f64_e32 v[86:87], v[166:167], v[40:41]
	v_mul_f64_e32 v[62:63], v[174:175], v[14:15]
	;; [unrolled: 1-line block ×6, first 2 shown]
	s_wait_dscnt 0x1
	v_mul_f64_e32 v[92:93], v[150:151], v[42:43]
	s_mov_b32 s37, 0xbfe7f3cc
	s_wait_dscnt 0x0
	v_mul_f64_e32 v[94:95], v[162:163], v[48:49]
	v_mul_f64_e32 v[98:99], v[162:163], v[46:47]
	s_mov_b32 s20, 0xebaa3ed8
	s_mov_b32 s26, 0x2ef20147
	;; [unrolled: 1-line block ×13, first 2 shown]
	s_wait_alu 0xfffe
	s_mov_b32 s2, s12
	s_mov_b32 s8, s10
	;; [unrolled: 1-line block ×3, first 2 shown]
	v_fma_f64 v[90:91], v[116:117], v[0:1], v[4:5]
	v_fma_f64 v[56:57], v[116:117], v[2:3], -v[56:57]
	v_fma_f64 v[0:1], v[176:177], v[8:9], -v[58:59]
	;; [unrolled: 1-line block ×3, first 2 shown]
	v_mul_f64_e32 v[60:61], v[154:155], v[30:31]
	v_fma_f64 v[20:21], v[72:73], v[20:21], -v[66:67]
	v_fma_f64 v[8:9], v[168:169], v[24:25], -v[68:69]
	v_fma_f64 v[24:25], v[76:77], v[10:11], v[64:65]
	v_fma_f64 v[2:3], v[176:177], v[6:7], v[74:75]
	;; [unrolled: 1-line block ×5, first 2 shown]
	v_fma_f64 v[22:23], v[96:97], v[28:29], -v[82:83]
	v_fma_f64 v[14:15], v[164:165], v[38:39], v[86:87]
	v_fma_f64 v[4:5], v[172:173], v[16:17], -v[62:63]
	v_mul_f64_e32 v[16:17], v[154:155], v[32:33]
	v_fma_f64 v[18:19], v[156:157], v[34:35], v[100:101]
	v_mul_f64_e32 v[62:63], v[150:151], v[44:45]
	v_fma_f64 v[26:27], v[96:97], v[26:27], v[78:79]
	v_fma_f64 v[12:13], v[164:165], v[40:41], -v[88:89]
	v_fma_f64 v[44:45], v[148:149], v[44:45], -v[92:93]
	s_mov_b32 s38, s24
	v_fma_f64 v[46:47], v[160:161], v[46:47], v[94:95]
	v_fma_f64 v[48:49], v[160:161], v[48:49], -v[98:99]
	s_mov_b32 s23, 0x3fefc445
	s_mov_b32 s35, 0x3fcea1e5
	;; [unrolled: 1-line block ×4, first 2 shown]
	scratch_load_b32 v50, off, off offset:124 th:TH_LOAD_LU ; 4-byte Folded Reload
	v_add_f64_e32 v[28:29], v[52:53], v[90:91]
	v_add_f64_e32 v[38:39], v[54:55], v[56:57]
	v_add_f64_e64 v[40:41], v[56:57], -v[0:1]
	v_add_f64_e32 v[56:57], v[56:57], v[0:1]
	v_fma_f64 v[32:33], v[152:153], v[32:33], -v[60:61]
	v_add_f64_e64 v[34:35], v[20:21], -v[8:9]
	v_add_f64_e32 v[60:61], v[90:91], v[2:3]
	v_add_f64_e32 v[70:71], v[24:25], v[6:7]
	v_add_f64_e64 v[72:73], v[24:25], -v[6:7]
	v_add_f64_e32 v[74:75], v[64:65], v[10:11]
	v_add_f64_e64 v[76:77], v[64:65], -v[10:11]
	v_add_f64_e64 v[66:67], v[58:59], -v[4:5]
	v_fma_f64 v[30:31], v[152:153], v[30:31], v[16:17]
	v_fma_f64 v[16:17], v[156:157], v[36:37], -v[102:103]
	v_add_f64_e32 v[36:37], v[20:21], v[8:9]
	v_add_f64_e32 v[68:69], v[58:59], v[4:5]
	v_fma_f64 v[42:43], v[148:149], v[42:43], v[62:63]
	v_add_f64_e64 v[62:63], v[90:91], -v[2:3]
	v_add_f64_e32 v[78:79], v[26:27], v[14:15]
	v_add_f64_e32 v[80:81], v[22:23], v[12:13]
	v_add_f64_e64 v[82:83], v[26:27], -v[14:15]
	v_add_f64_e64 v[84:85], v[22:23], -v[12:13]
	v_add_f64_e32 v[24:25], v[28:29], v[24:25]
	v_add_f64_e32 v[28:29], v[38:39], v[58:59]
	v_mul_f64_e32 v[38:39], s[12:13], v[40:41]
	v_mul_f64_e32 v[58:59], s[14:15], v[56:57]
	;; [unrolled: 1-line block ×15, first 2 shown]
	s_wait_alu 0xfffe
	v_mul_f64_e32 v[114:115], s[38:39], v[66:67]
	v_mul_f64_e32 v[104:105], s[16:17], v[68:69]
	;; [unrolled: 1-line block ×21, first 2 shown]
	v_add_f64_e32 v[24:25], v[24:25], v[64:65]
	v_add_f64_e32 v[20:21], v[28:29], v[20:21]
	v_fma_f64 v[28:29], v[60:61], s[14:15], v[38:39]
	v_fma_f64 v[64:65], v[62:63], s[2:3], v[58:59]
	;; [unrolled: 1-line block ×5, first 2 shown]
	v_fma_f64 v[86:87], v[60:61], s[16:17], -v[86:87]
	v_fma_f64 v[166:167], v[60:61], s[20:21], v[90:91]
	v_fma_f64 v[90:91], v[60:61], s[20:21], -v[90:91]
	v_fma_f64 v[172:173], v[62:63], s[30:31], v[96:97]
	v_fma_f64 v[96:97], v[62:63], s[26:27], v[96:97]
	;; [unrolled: 1-line block ×3, first 2 shown]
	v_fma_f64 v[38:39], v[60:61], s[14:15], -v[38:39]
	v_fma_f64 v[88:89], v[62:63], s[10:11], v[88:89]
	v_fma_f64 v[168:169], v[62:63], s[22:23], v[92:93]
	;; [unrolled: 1-line block ×4, first 2 shown]
	v_fma_f64 v[94:95], v[60:61], s[28:29], -v[94:95]
	v_fma_f64 v[174:175], v[60:61], s[36:37], v[98:99]
	v_fma_f64 v[98:99], v[60:61], s[36:37], -v[98:99]
	v_fma_f64 v[100:101], v[62:63], s[24:25], v[100:101]
	v_fma_f64 v[178:179], v[60:61], s[42:43], v[40:41]
	;; [unrolled: 1-line block ×3, first 2 shown]
	v_fma_f64 v[40:41], v[60:61], s[42:43], -v[40:41]
	v_fma_f64 v[56:57], v[62:63], s[40:41], v[56:57]
	v_fma_f64 v[60:61], v[70:71], s[16:17], v[102:103]
	;; [unrolled: 1-line block ×6, first 2 shown]
	v_fma_f64 v[106:107], v[70:71], s[28:29], -v[106:107]
	v_fma_f64 v[186:187], v[70:71], s[42:43], v[110:111]
	v_fma_f64 v[110:111], v[70:71], s[42:43], -v[110:111]
	v_fma_f64 v[192:193], v[72:73], s[24:25], v[116:117]
	v_mul_f64_e32 v[142:143], s[26:27], v[84:85]
	v_mul_f64_e32 v[144:145], s[28:29], v[80:81]
	v_mul_f64_e32 v[146:147], s[38:39], v[84:85]
	v_add_f64_e32 v[24:25], v[24:25], v[26:27]
	v_add_f64_e32 v[20:21], v[20:21], v[22:23]
	v_fma_f64 v[26:27], v[72:73], s[38:39], v[116:117]
	v_fma_f64 v[116:117], v[72:73], s[18:19], v[120:121]
	v_add_f64_e32 v[28:29], v[52:53], v[28:29]
	v_add_f64_e32 v[58:59], v[54:55], v[58:59]
	;; [unrolled: 1-line block ×9, first 2 shown]
	v_mul_f64_e32 v[148:149], s[36:37], v[80:81]
	v_mul_f64_e32 v[150:151], s[2:3], v[84:85]
	;; [unrolled: 1-line block ×9, first 2 shown]
	v_fma_f64 v[102:103], v[70:71], s[16:17], -v[102:103]
	v_fma_f64 v[108:109], v[72:73], s[26:27], v[108:109]
	v_fma_f64 v[188:189], v[72:73], s[34:35], v[112:113]
	;; [unrolled: 1-line block ×4, first 2 shown]
	v_fma_f64 v[22:23], v[70:71], s[36:37], -v[114:115]
	v_fma_f64 v[114:115], v[70:71], s[20:21], v[118:119]
	v_fma_f64 v[118:119], v[70:71], s[20:21], -v[118:119]
	v_fma_f64 v[120:121], v[72:73], s[22:23], v[120:121]
	v_fma_f64 v[194:195], v[70:71], s[14:15], v[66:67]
	v_add_f64_e32 v[64:65], v[54:55], v[64:65]
	v_fma_f64 v[196:197], v[72:73], s[12:13], v[68:69]
	v_fma_f64 v[66:67], v[70:71], s[14:15], -v[66:67]
	v_fma_f64 v[68:69], v[72:73], s[2:3], v[68:69]
	v_add_f64_e32 v[38:39], v[52:53], v[38:39]
	v_fma_f64 v[70:71], v[74:75], s[20:21], v[122:123]
	v_add_f64_e32 v[24:25], v[24:25], v[30:31]
	v_add_f64_e32 v[20:21], v[20:21], v[32:33]
	v_fma_f64 v[72:73], v[76:77], s[22:23], v[124:125]
	v_fma_f64 v[124:125], v[76:77], s[18:19], v[124:125]
	v_add_f64_e32 v[88:89], v[54:55], v[88:89]
	v_add_f64_e32 v[168:169], v[54:55], v[168:169]
	;; [unrolled: 1-line block ×13, first 2 shown]
	v_fma_f64 v[54:55], v[74:75], s[42:43], v[126:127]
	v_add_f64_e32 v[28:29], v[60:61], v[28:29]
	v_fma_f64 v[60:61], v[74:75], s[28:29], v[130:131]
	v_fma_f64 v[130:131], v[74:75], s[28:29], -v[130:131]
	v_add_f64_e32 v[58:59], v[104:105], v[58:59]
	v_add_f64_e32 v[162:163], v[182:183], v[162:163]
	v_add_f64_e32 v[164:165], v[184:185], v[164:165]
	v_fma_f64 v[184:185], v[76:77], s[8:9], v[140:141]
	v_add_f64_e32 v[86:87], v[106:107], v[86:87]
	v_add_f64_e32 v[106:107], v[186:187], v[166:167]
	v_add_f64_e32 v[90:91], v[110:111], v[90:91]
	v_add_f64_e32 v[26:27], v[26:27], v[96:97]
	v_add_f64_e32 v[96:97], v[116:117], v[176:177]
	v_add_f64_e64 v[166:167], v[32:33], -v[16:17]
	v_add_f64_e32 v[32:33], v[32:33], v[16:17]
	v_fma_f64 v[122:123], v[74:75], s[20:21], -v[122:123]
	v_fma_f64 v[56:57], v[76:77], s[34:35], v[128:129]
	v_fma_f64 v[126:127], v[74:75], s[42:43], -v[126:127]
	v_fma_f64 v[128:129], v[76:77], s[40:41], v[128:129]
	v_add_f64_e32 v[62:63], v[62:63], v[64:65]
	v_fma_f64 v[64:65], v[76:77], s[26:27], v[132:133]
	v_add_f64_e32 v[24:25], v[24:25], v[42:43]
	v_add_f64_e32 v[20:21], v[20:21], v[44:45]
	v_fma_f64 v[132:133], v[76:77], s[30:31], v[132:133]
	v_add_f64_e32 v[38:39], v[102:103], v[38:39]
	v_fma_f64 v[102:103], v[74:75], s[14:15], v[134:135]
	v_fma_f64 v[104:105], v[76:77], s[12:13], v[136:137]
	v_fma_f64 v[134:135], v[74:75], s[14:15], -v[134:135]
	v_fma_f64 v[136:137], v[76:77], s[2:3], v[136:137]
	v_fma_f64 v[182:183], v[74:75], s[16:17], v[138:139]
	v_fma_f64 v[138:139], v[74:75], s[16:17], -v[138:139]
	v_fma_f64 v[140:141], v[76:77], s[10:11], v[140:141]
	v_add_f64_e32 v[88:89], v[108:109], v[88:89]
	v_add_f64_e32 v[108:109], v[188:189], v[168:169]
	;; [unrolled: 1-line block ×7, first 2 shown]
	v_fma_f64 v[114:115], v[74:75], s[36:37], v[34:35]
	v_fma_f64 v[116:117], v[76:77], s[38:39], v[36:37]
	v_fma_f64 v[34:35], v[74:75], s[36:37], -v[34:35]
	v_fma_f64 v[36:37], v[76:77], s[24:25], v[36:37]
	v_fma_f64 v[74:75], v[78:79], s[28:29], v[142:143]
	v_fma_f64 v[76:77], v[82:83], s[30:31], v[144:145]
	v_fma_f64 v[142:143], v[78:79], s[28:29], -v[142:143]
	v_fma_f64 v[144:145], v[82:83], s[26:27], v[144:145]
	;; [unrolled: 4-line block ×5, first 2 shown]
	v_add_f64_e32 v[24:25], v[24:25], v[46:47]
	v_add_f64_e32 v[20:21], v[20:21], v[48:49]
	v_fma_f64 v[188:189], v[78:79], s[42:43], v[158:159]
	v_fma_f64 v[190:191], v[82:83], s[40:41], v[160:161]
	v_fma_f64 v[158:159], v[78:79], s[42:43], -v[158:159]
	v_fma_f64 v[160:161], v[82:83], s[34:35], v[160:161]
	v_fma_f64 v[192:193], v[78:79], s[16:17], v[84:85]
	v_fma_f64 v[78:79], v[78:79], s[16:17], -v[84:85]
	v_fma_f64 v[84:85], v[82:83], s[10:11], v[80:81]
	v_fma_f64 v[80:81], v[82:83], s[8:9], v[80:81]
	v_add_f64_e64 v[82:83], v[44:45], -v[48:49]
	v_add_f64_e32 v[44:45], v[44:45], v[48:49]
	v_add_f64_e32 v[98:99], v[118:119], v[98:99]
	;; [unrolled: 1-line block ×3, first 2 shown]
	v_add_f64_e64 v[42:43], v[42:43], -v[46:47]
	v_add_f64_e32 v[46:47], v[30:31], v[18:19]
	v_add_f64_e64 v[30:31], v[30:31], -v[18:19]
	v_add_f64_e32 v[100:101], v[120:121], v[100:101]
	v_mul_f64_e32 v[120:121], s[24:25], v[166:167]
	v_mul_f64_e32 v[48:49], s[36:37], v[32:33]
	v_add_f64_e32 v[40:41], v[66:67], v[40:41]
	v_mul_f64_e32 v[66:67], s[10:11], v[166:167]
	v_add_f64_e32 v[28:29], v[70:71], v[28:29]
	v_add_f64_e32 v[58:59], v[124:125], v[58:59]
	;; [unrolled: 1-line block ×3, first 2 shown]
	v_mul_f64_e32 v[162:163], s[14:15], v[32:33]
	v_add_f64_e32 v[90:91], v[130:131], v[90:91]
	v_add_f64_e32 v[96:97], v[184:185], v[96:97]
	;; [unrolled: 1-line block ×8, first 2 shown]
	v_mul_f64_e32 v[196:197], s[20:21], v[32:33]
	v_mul_f64_e32 v[68:69], s[16:17], v[32:33]
	v_add_f64_e32 v[38:39], v[122:123], v[38:39]
	v_mul_f64_e32 v[122:123], s[42:43], v[32:33]
	v_add_f64_e32 v[18:19], v[24:25], v[18:19]
	v_add_f64_e32 v[16:17], v[20:21], v[16:17]
	v_mul_f64_e32 v[32:33], s[28:29], v[32:33]
	v_mul_f64_e32 v[194:195], s[22:23], v[166:167]
	v_add_f64_e32 v[56:57], v[56:57], v[164:165]
	v_add_f64_e32 v[60:61], v[60:61], v[106:107]
	v_mul_f64_e32 v[70:71], s[34:35], v[166:167]
	v_add_f64_e32 v[102:103], v[102:103], v[110:111]
	v_mul_f64_e32 v[124:125], s[2:3], v[166:167]
	;; [unrolled: 2-line block ×3, first 2 shown]
	v_mul_f64_e32 v[24:25], s[16:17], v[44:45]
	v_add_f64_e32 v[94:95], v[182:183], v[94:95]
	v_mul_f64_e32 v[166:167], s[26:27], v[166:167]
	v_add_f64_e32 v[86:87], v[126:127], v[86:87]
	v_add_f64_e32 v[26:27], v[136:137], v[26:27]
	;; [unrolled: 1-line block ×4, first 2 shown]
	v_fma_f64 v[112:113], v[46:47], s[36:37], v[120:121]
	v_fma_f64 v[134:135], v[30:31], s[38:39], v[48:49]
	;; [unrolled: 1-line block ×4, first 2 shown]
	v_fma_f64 v[66:67], v[46:47], s[16:17], -v[66:67]
	v_add_f64_e32 v[34:35], v[34:35], v[40:41]
	v_add_f64_e32 v[28:29], v[74:75], v[28:29]
	v_fma_f64 v[40:41], v[30:31], s[12:13], v[162:163]
	v_add_f64_e32 v[58:59], v[144:145], v[58:59]
	v_add_f64_e32 v[90:91], v[150:151], v[90:91]
	;; [unrolled: 1-line block ×4, first 2 shown]
	v_fma_f64 v[162:163], v[30:31], s[2:3], v[162:163]
	v_add_f64_e32 v[114:115], v[114:115], v[178:179]
	v_add_f64_e32 v[116:117], v[116:117], v[180:181]
	;; [unrolled: 1-line block ×3, first 2 shown]
	v_fma_f64 v[182:183], v[30:31], s[18:19], v[196:197]
	v_fma_f64 v[196:197], v[30:31], s[22:23], v[196:197]
	;; [unrolled: 1-line block ×4, first 2 shown]
	v_add_f64_e32 v[14:15], v[18:19], v[14:15]
	v_add_f64_e32 v[12:13], v[16:17], v[12:13]
	v_fma_f64 v[178:179], v[30:31], s[40:41], v[122:123]
	v_fma_f64 v[122:123], v[30:31], s[34:35], v[122:123]
	;; [unrolled: 1-line block ×4, first 2 shown]
	v_add_f64_e32 v[30:31], v[72:73], v[62:63]
	v_mul_f64_e32 v[164:165], s[40:41], v[82:83]
	v_mul_f64_e32 v[128:129], s[2:3], v[82:83]
	;; [unrolled: 1-line block ×3, first 2 shown]
	v_fma_f64 v[74:75], v[118:119], s[36:37], v[108:109]
	v_mul_f64_e32 v[132:133], s[8:9], v[82:83]
	v_mul_f64_e32 v[20:21], s[28:29], v[44:45]
	v_fma_f64 v[120:121], v[46:47], s[36:37], -v[120:121]
	v_fma_f64 v[136:137], v[46:47], s[20:21], v[194:195]
	v_add_f64_e32 v[38:39], v[142:143], v[38:39]
	v_add_f64_e32 v[54:55], v[168:169], v[54:55]
	;; [unrolled: 1-line block ×3, first 2 shown]
	v_mul_f64_e32 v[130:131], s[36:37], v[44:45]
	v_add_f64_e32 v[60:61], v[172:173], v[60:61]
	v_add_f64_e32 v[64:65], v[174:175], v[64:65]
	v_mul_f64_e32 v[126:127], s[42:43], v[44:45]
	v_fma_f64 v[140:141], v[46:47], s[42:43], v[70:71]
	v_add_f64_e32 v[34:35], v[78:79], v[34:35]
	v_fma_f64 v[78:79], v[118:119], s[36:37], -v[108:109]
	v_fma_f64 v[108:109], v[42:43], s[10:11], v[24:25]
	v_add_f64_e32 v[102:103], v[176:177], v[102:103]
	v_add_f64_e32 v[104:105], v[186:187], v[104:105]
	;; [unrolled: 1-line block ×3, first 2 shown]
	v_mul_f64_e32 v[110:111], s[26:27], v[82:83]
	v_fma_f64 v[70:71], v[46:47], s[42:43], -v[70:71]
	v_fma_f64 v[180:181], v[46:47], s[14:15], v[124:125]
	v_add_f64_e32 v[92:93], v[152:153], v[92:93]
	v_add_f64_e32 v[22:23], v[154:155], v[22:23]
	;; [unrolled: 1-line block ×3, first 2 shown]
	v_mul_f64_e32 v[82:83], s[22:23], v[82:83]
	v_mul_f64_e32 v[44:45], s[20:21], v[44:45]
	v_fma_f64 v[194:195], v[46:47], s[20:21], -v[194:195]
	v_add_f64_e32 v[10:11], v[14:15], v[10:11]
	v_add_f64_e32 v[8:9], v[12:13], v[8:9]
	;; [unrolled: 1-line block ×5, first 2 shown]
	v_fma_f64 v[90:91], v[42:43], s[8:9], v[24:25]
	v_fma_f64 v[124:125], v[46:47], s[14:15], -v[124:125]
	v_fma_f64 v[18:19], v[46:47], s[28:29], v[166:167]
	v_fma_f64 v[46:47], v[46:47], s[28:29], -v[166:167]
	v_add_f64_e32 v[86:87], v[146:147], v[86:87]
	v_add_f64_e32 v[26:27], v[156:157], v[26:27]
	;; [unrolled: 1-line block ×9, first 2 shown]
	v_fma_f64 v[32:33], v[118:119], s[42:43], v[164:165]
	v_fma_f64 v[62:63], v[118:119], s[42:43], -v[164:165]
	v_fma_f64 v[164:165], v[118:119], s[14:15], v[128:129]
	v_fma_f64 v[166:167], v[42:43], s[12:13], v[106:107]
	v_fma_f64 v[80:81], v[118:119], s[16:17], v[132:133]
	v_fma_f64 v[116:117], v[118:119], s[16:17], -v[132:133]
	v_fma_f64 v[132:133], v[42:43], s[30:31], v[20:21]
	v_fma_f64 v[144:145], v[42:43], s[26:27], v[20:21]
	v_add_f64_e32 v[20:21], v[120:121], v[38:39]
	v_add_f64_e32 v[30:31], v[136:137], v[54:55]
	;; [unrolled: 1-line block ×3, first 2 shown]
	v_fma_f64 v[142:143], v[42:43], s[38:39], v[130:131]
	v_add_f64_e32 v[54:55], v[184:185], v[60:61]
	v_add_f64_e32 v[56:57], v[138:139], v[64:65]
	v_fma_f64 v[72:73], v[42:43], s[40:41], v[126:127]
	v_add_f64_e32 v[64:65], v[140:141], v[102:103]
	v_add_f64_e32 v[66:67], v[178:179], v[104:105]
	;; [unrolled: 3-line block ×3, first 2 shown]
	v_add_f64_e32 v[70:71], v[180:181], v[94:95]
	v_add_f64_e32 v[96:97], v[8:9], v[4:5]
	v_fma_f64 v[128:129], v[118:119], s[14:15], -v[128:129]
	v_fma_f64 v[110:111], v[118:119], s[28:29], -v[110:111]
	v_add_f64_e32 v[24:25], v[78:79], v[58:59]
	v_fma_f64 v[146:147], v[118:119], s[20:21], v[82:83]
	v_fma_f64 v[148:149], v[42:43], s[18:19], v[44:45]
	v_fma_f64 v[82:83], v[118:119], s[20:21], -v[82:83]
	v_fma_f64 v[118:119], v[42:43], s[22:23], v[44:45]
	v_add_f64_e32 v[44:45], v[194:195], v[86:87]
	v_add_f64_e32 v[26:27], v[122:123], v[26:27]
	;; [unrolled: 1-line block ×5, first 2 shown]
	v_fma_f64 v[92:93], v[42:43], s[24:25], v[130:131]
	v_add_f64_e32 v[84:85], v[16:17], v[36:37]
	v_add_f64_e32 v[48:49], v[196:197], v[88:89]
	;; [unrolled: 1-line block ×5, first 2 shown]
	v_fma_f64 v[94:95], v[42:43], s[2:3], v[106:107]
	v_fma_f64 v[98:99], v[42:43], s[34:35], v[126:127]
	v_add_f64_e32 v[100:101], v[134:135], v[12:13]
	v_add_f64_e32 v[4:5], v[32:33], v[14:15]
	s_mul_u64 s[2:3], s[4:5], 0x4e0
	v_add_f64_e32 v[8:9], v[62:63], v[20:21]
	v_add_f64_e32 v[12:13], v[164:165], v[30:31]
	;; [unrolled: 1-line block ×12, first 2 shown]
	scratch_load_b64 v[0:1], off, off offset:84 th:TH_LOAD_LU ; 8-byte Folded Reload
	v_add_f64_e32 v[16:17], v[128:129], v[44:45]
	v_add_f64_e32 v[44:45], v[146:147], v[18:19]
	;; [unrolled: 1-line block ×11, first 2 shown]
	s_wait_loadcnt 0x1
	v_mad_co_u64_u32 v[60:61], null, s4, v50, 0
	v_add_f64_e32 v[6:7], v[98:99], v[100:101]
	ds_store_b128 v51, v[12:15] offset:2496
	ds_store_b128 v51, v[20:23] offset:3744
	;; [unrolled: 1-line block ×11, first 2 shown]
	ds_store_b128 v51, v[56:59]
	ds_store_b128 v51, v[4:7] offset:1248
	global_wb scope:SCOPE_SE
	s_wait_loadcnt_dscnt 0x0
	s_barrier_signal -1
	s_barrier_wait -1
	global_inv scope:SCOPE_SE
	ds_load_b128 v[8:11], v51 offset:2496
	v_mov_b32_e32 v1, v61
	ds_load_b128 v[4:7], v51 offset:1248
	v_mov_b32_e32 v2, v0
	s_delay_alu instid0(VALU_DEP_1) | instskip(NEXT) | instid1(VALU_DEP_1)
	v_mad_co_u64_u32 v[48:49], null, s6, v2, 0
	v_mov_b32_e32 v0, v49
	s_delay_alu instid0(VALU_DEP_1) | instskip(NEXT) | instid1(VALU_DEP_1)
	v_mad_co_u64_u32 v[2:3], null, s7, v2, v[0:1]
	v_mov_b32_e32 v49, v2
	v_mad_co_u64_u32 v[0:1], null, s5, v50, v[1:2]
	s_delay_alu instid0(VALU_DEP_2) | instskip(NEXT) | instid1(VALU_DEP_2)
	v_lshlrev_b64_e32 v[28:29], 4, v[48:49]
	v_mov_b32_e32 v61, v0
	ds_load_b128 v[0:3], v51
	v_add_co_u32 v82, vcc_lo, s0, v28
	ds_load_b128 v[12:15], v51 offset:3744
	ds_load_b128 v[16:19], v51 offset:4992
	;; [unrolled: 1-line block ×4, first 2 shown]
	s_wait_alu 0xfffd
	v_add_co_ci_u32_e32 v83, vcc_lo, s1, v29, vcc_lo
	ds_load_b128 v[28:31], v51 offset:8736
	ds_load_b128 v[32:35], v51 offset:9984
	ds_load_b128 v[36:39], v51 offset:11232
	ds_load_b128 v[40:43], v51 offset:12480
	ds_load_b128 v[44:47], v51 offset:13728
	ds_load_b128 v[48:51], v51 offset:14976
	s_clause 0x1
	scratch_load_b128 v[114:117], off, off offset:108 th:TH_LOAD_LU
	scratch_load_b128 v[110:113], off, off offset:92 th:TH_LOAD_LU
	v_lshlrev_b64_e32 v[52:53], 4, v[60:61]
	s_mov_b32 s0, 0xfc7729e9
	s_mov_b32 s1, 0x3f502864
	s_delay_alu instid0(VALU_DEP_1) | instskip(SKIP_1) | instid1(VALU_DEP_2)
	v_add_co_u32 v52, vcc_lo, v82, v52
	s_wait_alu 0xfffd
	v_add_co_ci_u32_e32 v53, vcc_lo, v83, v53, vcc_lo
	s_wait_alu 0xfffe
	s_delay_alu instid0(VALU_DEP_2) | instskip(SKIP_1) | instid1(VALU_DEP_2)
	v_add_co_u32 v106, vcc_lo, v52, s2
	s_wait_alu 0xfffd
	v_add_co_ci_u32_e32 v107, vcc_lo, s3, v53, vcc_lo
	s_delay_alu instid0(VALU_DEP_2) | instskip(SKIP_1) | instid1(VALU_DEP_2)
	v_add_co_u32 v108, vcc_lo, v106, s2
	s_wait_alu 0xfffd
	v_add_co_ci_u32_e32 v109, vcc_lo, s3, v107, vcc_lo
	s_wait_loadcnt_dscnt 0x10a
	v_mul_f64_e32 v[54:55], v[116:117], v[2:3]
	v_mul_f64_e32 v[56:57], v[116:117], v[0:1]
	scratch_load_b128 v[116:119], off, off offset:128 th:TH_LOAD_LU ; 16-byte Folded Reload
	s_wait_loadcnt 0x1
	v_mul_f64_e32 v[58:59], v[112:113], v[6:7]
	v_mul_f64_e32 v[60:61], v[112:113], v[4:5]
	v_fma_f64 v[0:1], v[114:115], v[0:1], v[54:55]
	v_fma_f64 v[2:3], v[114:115], v[2:3], -v[56:57]
	v_add_co_u32 v54, vcc_lo, v108, s2
	v_fma_f64 v[4:5], v[110:111], v[4:5], v[58:59]
	v_fma_f64 v[6:7], v[110:111], v[6:7], -v[60:61]
	s_wait_alu 0xfffd
	v_add_co_ci_u32_e32 v55, vcc_lo, s3, v109, vcc_lo
	v_add_co_u32 v56, vcc_lo, v54, s2
	s_wait_alu 0xfffd
	s_delay_alu instid0(VALU_DEP_2) | instskip(NEXT) | instid1(VALU_DEP_2)
	v_add_co_ci_u32_e32 v57, vcc_lo, s3, v55, vcc_lo
	v_add_co_u32 v58, vcc_lo, v56, s2
	s_wait_alu 0xfffd
	s_delay_alu instid0(VALU_DEP_2) | instskip(NEXT) | instid1(VALU_DEP_2)
	v_add_co_ci_u32_e32 v59, vcc_lo, s3, v57, vcc_lo
	v_add_co_u32 v60, vcc_lo, v58, s2
	s_wait_alu 0xfffd
	s_delay_alu instid0(VALU_DEP_2)
	v_add_co_ci_u32_e32 v61, vcc_lo, s3, v59, vcc_lo
	v_mul_f64_e32 v[0:1], s[0:1], v[0:1]
	v_mul_f64_e32 v[2:3], s[0:1], v[2:3]
	;; [unrolled: 1-line block ×4, first 2 shown]
	s_wait_loadcnt 0x0
	v_mul_f64_e32 v[62:63], v[118:119], v[10:11]
	v_mul_f64_e32 v[64:65], v[118:119], v[8:9]
	scratch_load_b128 v[118:121], off, off offset:144 th:TH_LOAD_LU ; 16-byte Folded Reload
	v_fma_f64 v[8:9], v[116:117], v[8:9], v[62:63]
	v_fma_f64 v[10:11], v[116:117], v[10:11], -v[64:65]
	v_add_co_u32 v62, vcc_lo, v60, s2
	s_wait_alu 0xfffd
	v_add_co_ci_u32_e32 v63, vcc_lo, s3, v61, vcc_lo
	s_delay_alu instid0(VALU_DEP_2) | instskip(SKIP_1) | instid1(VALU_DEP_2)
	v_add_co_u32 v64, vcc_lo, v62, s2
	s_wait_alu 0xfffd
	v_add_co_ci_u32_e32 v65, vcc_lo, s3, v63, vcc_lo
	v_mul_f64_e32 v[8:9], s[0:1], v[8:9]
	v_mul_f64_e32 v[10:11], s[0:1], v[10:11]
	s_wait_loadcnt_dscnt 0x9
	v_mul_f64_e32 v[66:67], v[120:121], v[14:15]
	v_mul_f64_e32 v[68:69], v[120:121], v[12:13]
	scratch_load_b128 v[120:123], off, off offset:160 th:TH_LOAD_LU ; 16-byte Folded Reload
	v_fma_f64 v[12:13], v[118:119], v[12:13], v[66:67]
	v_fma_f64 v[14:15], v[118:119], v[14:15], -v[68:69]
	v_add_co_u32 v66, vcc_lo, v64, s2
	s_wait_alu 0xfffd
	v_add_co_ci_u32_e32 v67, vcc_lo, s3, v65, vcc_lo
	s_delay_alu instid0(VALU_DEP_4) | instskip(NEXT) | instid1(VALU_DEP_4)
	v_mul_f64_e32 v[12:13], s[0:1], v[12:13]
	v_mul_f64_e32 v[14:15], s[0:1], v[14:15]
	s_wait_loadcnt_dscnt 0x8
	v_mul_f64_e32 v[70:71], v[122:123], v[18:19]
	v_mul_f64_e32 v[72:73], v[122:123], v[16:17]
	scratch_load_b128 v[122:125], off, off offset:176 th:TH_LOAD_LU ; 16-byte Folded Reload
	v_fma_f64 v[16:17], v[120:121], v[16:17], v[70:71]
	v_fma_f64 v[18:19], v[120:121], v[18:19], -v[72:73]
	s_delay_alu instid0(VALU_DEP_2) | instskip(NEXT) | instid1(VALU_DEP_2)
	v_mul_f64_e32 v[16:17], s[0:1], v[16:17]
	v_mul_f64_e32 v[18:19], s[0:1], v[18:19]
	s_wait_loadcnt_dscnt 0x7
	v_mul_f64_e32 v[74:75], v[124:125], v[22:23]
	v_mul_f64_e32 v[76:77], v[124:125], v[20:21]
	scratch_load_b128 v[124:127], off, off offset:192 th:TH_LOAD_LU ; 16-byte Folded Reload
	v_fma_f64 v[20:21], v[122:123], v[20:21], v[74:75]
	v_fma_f64 v[22:23], v[122:123], v[22:23], -v[76:77]
	s_delay_alu instid0(VALU_DEP_2) | instskip(NEXT) | instid1(VALU_DEP_2)
	;; [unrolled: 9-line block ×7, first 2 shown]
	v_mul_f64_e32 v[40:41], s[0:1], v[40:41]
	v_mul_f64_e32 v[42:43], s[0:1], v[42:43]
	s_wait_loadcnt_dscnt 0x1
	v_mul_f64_e32 v[98:99], v[136:137], v[46:47]
	v_mul_f64_e32 v[100:101], v[136:137], v[44:45]
	scratch_load_b128 v[136:139], off, off offset:288 th:TH_LOAD_LU ; 16-byte Folded Reload
	s_clause 0x4
	global_store_b128 v[52:53], v[0:3], off
	global_store_b128 v[106:107], v[4:7], off
	;; [unrolled: 1-line block ×6, first 2 shown]
	v_add_co_u32 v0, vcc_lo, v66, s2
	s_wait_alu 0xfffd
	v_add_co_ci_u32_e32 v1, vcc_lo, s3, v67, vcc_lo
	global_store_b128 v[60:61], v[24:27], off
	v_add_co_u32 v2, vcc_lo, v0, s2
	s_wait_alu 0xfffd
	v_add_co_ci_u32_e32 v3, vcc_lo, s3, v1, vcc_lo
	global_store_b128 v[62:63], v[28:31], off
	v_add_co_u32 v4, vcc_lo, v2, s2
	s_wait_alu 0xfffd
	v_add_co_ci_u32_e32 v5, vcc_lo, s3, v3, vcc_lo
	v_fma_f64 v[44:45], v[134:135], v[44:45], v[98:99]
	v_fma_f64 v[46:47], v[134:135], v[46:47], -v[100:101]
	s_delay_alu instid0(VALU_DEP_2) | instskip(NEXT) | instid1(VALU_DEP_2)
	v_mul_f64_e32 v[44:45], s[0:1], v[44:45]
	v_mul_f64_e32 v[46:47], s[0:1], v[46:47]
	s_wait_loadcnt_dscnt 0x0
	v_mul_f64_e32 v[102:103], v[138:139], v[50:51]
	v_mul_f64_e32 v[104:105], v[138:139], v[48:49]
	s_delay_alu instid0(VALU_DEP_2) | instskip(NEXT) | instid1(VALU_DEP_2)
	v_fma_f64 v[48:49], v[136:137], v[48:49], v[102:103]
	v_fma_f64 v[50:51], v[136:137], v[50:51], -v[104:105]
	s_delay_alu instid0(VALU_DEP_2) | instskip(NEXT) | instid1(VALU_DEP_2)
	v_mul_f64_e32 v[48:49], s[0:1], v[48:49]
	v_mul_f64_e32 v[50:51], s[0:1], v[50:51]
	global_store_b128 v[64:65], v[32:35], off
	global_store_b128 v[66:67], v[36:39], off
	;; [unrolled: 1-line block ×5, first 2 shown]
.LBB0_10:
	s_nop 0
	s_sendmsg sendmsg(MSG_DEALLOC_VGPRS)
	s_endpgm
	.section	.rodata,"a",@progbits
	.p2align	6, 0x0
	.amdhsa_kernel bluestein_single_back_len1014_dim1_dp_op_CI_CI
		.amdhsa_group_segment_fixed_size 32448
		.amdhsa_private_segment_fixed_size 392
		.amdhsa_kernarg_size 104
		.amdhsa_user_sgpr_count 2
		.amdhsa_user_sgpr_dispatch_ptr 0
		.amdhsa_user_sgpr_queue_ptr 0
		.amdhsa_user_sgpr_kernarg_segment_ptr 1
		.amdhsa_user_sgpr_dispatch_id 0
		.amdhsa_user_sgpr_private_segment_size 0
		.amdhsa_wavefront_size32 1
		.amdhsa_uses_dynamic_stack 0
		.amdhsa_enable_private_segment 1
		.amdhsa_system_sgpr_workgroup_id_x 1
		.amdhsa_system_sgpr_workgroup_id_y 0
		.amdhsa_system_sgpr_workgroup_id_z 0
		.amdhsa_system_sgpr_workgroup_info 0
		.amdhsa_system_vgpr_workitem_id 0
		.amdhsa_next_free_vgpr 256
		.amdhsa_next_free_sgpr 46
		.amdhsa_reserve_vcc 1
		.amdhsa_float_round_mode_32 0
		.amdhsa_float_round_mode_16_64 0
		.amdhsa_float_denorm_mode_32 3
		.amdhsa_float_denorm_mode_16_64 3
		.amdhsa_fp16_overflow 0
		.amdhsa_workgroup_processor_mode 1
		.amdhsa_memory_ordered 1
		.amdhsa_forward_progress 0
		.amdhsa_round_robin_scheduling 0
		.amdhsa_exception_fp_ieee_invalid_op 0
		.amdhsa_exception_fp_denorm_src 0
		.amdhsa_exception_fp_ieee_div_zero 0
		.amdhsa_exception_fp_ieee_overflow 0
		.amdhsa_exception_fp_ieee_underflow 0
		.amdhsa_exception_fp_ieee_inexact 0
		.amdhsa_exception_int_div_zero 0
	.end_amdhsa_kernel
	.text
.Lfunc_end0:
	.size	bluestein_single_back_len1014_dim1_dp_op_CI_CI, .Lfunc_end0-bluestein_single_back_len1014_dim1_dp_op_CI_CI
                                        ; -- End function
	.section	.AMDGPU.csdata,"",@progbits
; Kernel info:
; codeLenInByte = 21124
; NumSgprs: 48
; NumVgprs: 256
; ScratchSize: 392
; MemoryBound: 0
; FloatMode: 240
; IeeeMode: 1
; LDSByteSize: 32448 bytes/workgroup (compile time only)
; SGPRBlocks: 5
; VGPRBlocks: 31
; NumSGPRsForWavesPerEU: 48
; NumVGPRsForWavesPerEU: 256
; Occupancy: 5
; WaveLimiterHint : 1
; COMPUTE_PGM_RSRC2:SCRATCH_EN: 1
; COMPUTE_PGM_RSRC2:USER_SGPR: 2
; COMPUTE_PGM_RSRC2:TRAP_HANDLER: 0
; COMPUTE_PGM_RSRC2:TGID_X_EN: 1
; COMPUTE_PGM_RSRC2:TGID_Y_EN: 0
; COMPUTE_PGM_RSRC2:TGID_Z_EN: 0
; COMPUTE_PGM_RSRC2:TIDIG_COMP_CNT: 0
	.text
	.p2alignl 7, 3214868480
	.fill 96, 4, 3214868480
	.type	__hip_cuid_efb936ab93461d4e,@object ; @__hip_cuid_efb936ab93461d4e
	.section	.bss,"aw",@nobits
	.globl	__hip_cuid_efb936ab93461d4e
__hip_cuid_efb936ab93461d4e:
	.byte	0                               ; 0x0
	.size	__hip_cuid_efb936ab93461d4e, 1

	.ident	"AMD clang version 19.0.0git (https://github.com/RadeonOpenCompute/llvm-project roc-6.4.0 25133 c7fe45cf4b819c5991fe208aaa96edf142730f1d)"
	.section	".note.GNU-stack","",@progbits
	.addrsig
	.addrsig_sym __hip_cuid_efb936ab93461d4e
	.amdgpu_metadata
---
amdhsa.kernels:
  - .args:
      - .actual_access:  read_only
        .address_space:  global
        .offset:         0
        .size:           8
        .value_kind:     global_buffer
      - .actual_access:  read_only
        .address_space:  global
        .offset:         8
        .size:           8
        .value_kind:     global_buffer
      - .actual_access:  read_only
        .address_space:  global
        .offset:         16
        .size:           8
        .value_kind:     global_buffer
      - .actual_access:  read_only
        .address_space:  global
        .offset:         24
        .size:           8
        .value_kind:     global_buffer
      - .actual_access:  read_only
        .address_space:  global
        .offset:         32
        .size:           8
        .value_kind:     global_buffer
      - .offset:         40
        .size:           8
        .value_kind:     by_value
      - .address_space:  global
        .offset:         48
        .size:           8
        .value_kind:     global_buffer
      - .address_space:  global
        .offset:         56
        .size:           8
        .value_kind:     global_buffer
      - .address_space:  global
        .offset:         64
        .size:           8
        .value_kind:     global_buffer
      - .address_space:  global
        .offset:         72
        .size:           8
        .value_kind:     global_buffer
      - .offset:         80
        .size:           4
        .value_kind:     by_value
      - .address_space:  global
        .offset:         88
        .size:           8
        .value_kind:     global_buffer
      - .address_space:  global
        .offset:         96
        .size:           8
        .value_kind:     global_buffer
    .group_segment_fixed_size: 32448
    .kernarg_segment_align: 8
    .kernarg_segment_size: 104
    .language:       OpenCL C
    .language_version:
      - 2
      - 0
    .max_flat_workgroup_size: 156
    .name:           bluestein_single_back_len1014_dim1_dp_op_CI_CI
    .private_segment_fixed_size: 392
    .sgpr_count:     48
    .sgpr_spill_count: 0
    .symbol:         bluestein_single_back_len1014_dim1_dp_op_CI_CI.kd
    .uniform_work_group_size: 1
    .uses_dynamic_stack: false
    .vgpr_count:     256
    .vgpr_spill_count: 117
    .wavefront_size: 32
    .workgroup_processor_mode: 1
amdhsa.target:   amdgcn-amd-amdhsa--gfx1201
amdhsa.version:
  - 1
  - 2
...

	.end_amdgpu_metadata
